;; amdgpu-corpus repo=ROCm/rocFFT kind=compiled arch=gfx1030 opt=O3
	.text
	.amdgcn_target "amdgcn-amd-amdhsa--gfx1030"
	.amdhsa_code_object_version 6
	.protected	bluestein_single_fwd_len1428_dim1_dp_op_CI_CI ; -- Begin function bluestein_single_fwd_len1428_dim1_dp_op_CI_CI
	.globl	bluestein_single_fwd_len1428_dim1_dp_op_CI_CI
	.p2align	8
	.type	bluestein_single_fwd_len1428_dim1_dp_op_CI_CI,@function
bluestein_single_fwd_len1428_dim1_dp_op_CI_CI: ; @bluestein_single_fwd_len1428_dim1_dp_op_CI_CI
; %bb.0:
	v_mul_u32_u24_e32 v1, 0x227, v0
	s_mov_b64 s[62:63], s[2:3]
	s_mov_b64 s[60:61], s[0:1]
	s_load_dwordx4 s[0:3], s[4:5], 0x28
	s_add_u32 s60, s60, s7
	v_lshrrev_b32_e32 v1, 16, v1
	s_addc_u32 s61, s61, 0
	v_mov_b32_e32 v4, 0
	v_add_nc_u32_e32 v3, s6, v1
	v_mov_b32_e32 v2, v3
	buffer_store_dword v2, off, s[60:63], 0 offset:4 ; 4-byte Folded Spill
	buffer_store_dword v3, off, s[60:63], 0 offset:8 ; 4-byte Folded Spill
	s_waitcnt lgkmcnt(0)
	v_cmp_gt_u64_e32 vcc_lo, s[0:1], v[3:4]
	s_and_saveexec_b32 s0, vcc_lo
	s_cbranch_execz .LBB0_23
; %bb.1:
	s_clause 0x1
	s_load_dwordx2 s[12:13], s[4:5], 0x0
	s_load_dwordx2 s[14:15], s[4:5], 0x38
	v_mul_lo_u16 v1, 0x77, v1
	v_sub_nc_u16 v0, v0, v1
	v_and_b32_e32 v1, 0xffff, v0
	v_cmp_gt_u16_e32 vcc_lo, 0x54, v0
	v_lshlrev_b32_e32 v255, 4, v1
	buffer_store_dword v1, off, s[60:63], 0 ; 4-byte Folded Spill
	s_and_saveexec_b32 s1, vcc_lo
	s_cbranch_execz .LBB0_3
; %bb.2:
	s_load_dwordx2 s[6:7], s[4:5], 0x18
	s_waitcnt lgkmcnt(0)
	v_add_co_u32 v8, s0, s12, v255
	v_add_co_ci_u32_e64 v9, null, s13, 0, s0
	v_add_co_u32 v14, s0, 0x800, v8
	v_add_co_ci_u32_e64 v15, s0, 0, v9, s0
	v_add_co_u32 v18, s0, 0x1000, v8
	v_add_co_ci_u32_e64 v19, s0, 0, v9, s0
	;; [unrolled: 2-line block ×3, first 2 shown]
	v_add_co_u32 v30, s0, 0x2000, v8
	s_load_dwordx4 s[8:11], s[6:7], 0x0
	s_clause 0x1
	global_load_dwordx4 v[0:3], v255, s[12:13]
	global_load_dwordx4 v[4:7], v255, s[12:13] offset:1344
	s_clause 0x2
	buffer_load_dword v10, off, s[60:63], 0 offset:4
	buffer_load_dword v11, off, s[60:63], 0 offset:8
	buffer_load_dword v16, off, s[60:63], 0
	v_add_co_ci_u32_e64 v31, s0, 0, v9, s0
	v_add_co_u32 v38, s0, 0x2800, v8
	v_add_co_ci_u32_e64 v39, s0, 0, v9, s0
	v_add_co_u32 v42, s0, 0x3000, v8
	;; [unrolled: 2-line block ×5, first 2 shown]
	v_add_co_ci_u32_e64 v127, s0, 0, v9, s0
	s_waitcnt lgkmcnt(0)
	s_mul_i32 s6, s9, 0x540
	s_mul_hi_u32 s7, s8, 0x540
	s_add_i32 s7, s7, s6
	s_waitcnt vmcnt(2)
	v_mov_b32_e32 v12, v10
	s_waitcnt vmcnt(0)
	v_mad_u64_u32 v[32:33], null, s8, v16, 0
	v_mad_u64_u32 v[22:23], null, s10, v12, 0
	v_mov_b32_e32 v11, v33
	v_mov_b32_e32 v10, v23
	v_mad_u64_u32 v[12:13], null, s11, v12, v[10:11]
	v_mad_u64_u32 v[24:25], null, s9, v16, v[11:12]
	v_mov_b32_e32 v23, v12
	s_clause 0x2
	global_load_dwordx4 v[10:13], v[14:15], off offset:640
	global_load_dwordx4 v[14:17], v[14:15], off offset:1984
	global_load_dwordx4 v[18:21], v[18:19], off offset:1280
	v_lshlrev_b64 v[34:35], 4, v[22:23]
	v_mov_b32_e32 v33, v24
	s_clause 0x1
	global_load_dwordx4 v[22:25], v[26:27], off offset:576
	global_load_dwordx4 v[26:29], v[26:27], off offset:1920
	v_add_co_u32 v34, s0, s2, v34
	v_lshlrev_b64 v[32:33], 4, v[32:33]
	v_add_co_ci_u32_e64 v35, s0, s3, v35, s0
	s_mul_i32 s2, s8, 0x540
	v_add_co_u32 v58, s0, v34, v32
	v_add_co_ci_u32_e64 v59, s0, v35, v33, s0
	global_load_dwordx4 v[30:33], v[30:31], off offset:1216
	v_add_co_u32 v62, s0, v58, s2
	v_add_co_ci_u32_e64 v63, s0, s7, v59, s0
	s_clause 0x1
	global_load_dwordx4 v[34:37], v[38:39], off offset:512
	global_load_dwordx4 v[38:41], v[38:39], off offset:1856
	v_add_co_u32 v66, s0, v62, s2
	v_add_co_ci_u32_e64 v67, s0, s7, v63, s0
	global_load_dwordx4 v[42:45], v[42:43], off offset:1152
	v_add_co_u32 v70, s0, v66, s2
	v_add_co_ci_u32_e64 v71, s0, s7, v67, s0
	s_clause 0x1
	global_load_dwordx4 v[46:49], v[50:51], off offset:448
	global_load_dwordx4 v[50:53], v[50:51], off offset:1792
	v_add_co_u32 v74, s0, v70, s2
	v_add_co_ci_u32_e64 v75, s0, s7, v71, s0
	global_load_dwordx4 v[54:57], v[54:55], off offset:1088
	v_add_co_u32 v78, s0, v74, s2
	v_add_co_ci_u32_e64 v79, s0, s7, v75, s0
	s_clause 0x1
	global_load_dwordx4 v[58:61], v[58:59], off
	global_load_dwordx4 v[62:65], v[62:63], off
	v_add_co_u32 v82, s0, v78, s2
	v_add_co_ci_u32_e64 v83, s0, s7, v79, s0
	global_load_dwordx4 v[66:69], v[66:67], off
	v_add_co_u32 v86, s0, v82, s2
	v_add_co_ci_u32_e64 v87, s0, s7, v83, s0
	s_clause 0x1
	global_load_dwordx4 v[70:73], v[70:71], off
	global_load_dwordx4 v[74:77], v[74:75], off
	v_add_co_u32 v90, s0, v86, s2
	v_add_co_ci_u32_e64 v91, s0, s7, v87, s0
	global_load_dwordx4 v[78:81], v[78:79], off
	v_add_co_u32 v94, s0, v90, s2
	v_add_co_ci_u32_e64 v95, s0, s7, v91, s0
	;; [unrolled: 3-line block ×6, first 2 shown]
	v_add_co_u32 v118, s0, v110, s2
	v_add_co_ci_u32_e64 v119, s0, s7, v111, s0
	global_load_dwordx4 v[98:101], v[98:99], off
	global_load_dwordx4 v[102:105], v[102:103], off
	;; [unrolled: 1-line block ×5, first 2 shown]
	v_add_co_u32 v122, s0, v118, s2
	v_add_co_ci_u32_e64 v123, s0, s7, v119, s0
	v_add_co_u32 v8, s0, 0x5000, v8
	v_add_co_ci_u32_e64 v9, s0, 0, v9, s0
	;; [unrolled: 2-line block ×3, first 2 shown]
	global_load_dwordx4 v[118:121], v[126:127], off offset:384
	global_load_dwordx4 v[122:125], v[122:123], off
	s_clause 0x1
	global_load_dwordx4 v[126:129], v[126:127], off offset:1728
	global_load_dwordx4 v[130:133], v[8:9], off offset:1024
	global_load_dwordx4 v[134:137], v[134:135], off
	s_waitcnt vmcnt(19)
	v_mul_f64 v[8:9], v[60:61], v[2:3]
	v_mul_f64 v[2:3], v[58:59], v[2:3]
	s_waitcnt vmcnt(18)
	v_mul_f64 v[138:139], v[64:65], v[6:7]
	v_mul_f64 v[140:141], v[62:63], v[6:7]
	;; [unrolled: 3-line block ×6, first 2 shown]
	v_fma_f64 v[6:7], v[58:59], v[0:1], v[8:9]
	v_fma_f64 v[8:9], v[60:61], v[0:1], -v[2:3]
	v_fma_f64 v[0:1], v[62:63], v[4:5], v[138:139]
	v_fma_f64 v[2:3], v[64:65], v[4:5], -v[140:141]
	s_waitcnt vmcnt(13)
	v_mul_f64 v[4:5], v[84:85], v[28:29]
	v_mul_f64 v[28:29], v[82:83], v[28:29]
	s_waitcnt vmcnt(12)
	v_mul_f64 v[62:63], v[88:89], v[32:33]
	v_mul_f64 v[32:33], v[86:87], v[32:33]
	v_fma_f64 v[58:59], v[66:67], v[10:11], v[142:143]
	s_waitcnt vmcnt(11)
	v_mul_f64 v[64:65], v[92:93], v[36:37]
	v_mul_f64 v[36:37], v[90:91], v[36:37]
	v_fma_f64 v[60:61], v[68:69], v[10:11], -v[12:13]
	v_fma_f64 v[10:11], v[70:71], v[14:15], v[144:145]
	v_fma_f64 v[12:13], v[72:73], v[14:15], -v[16:17]
	s_waitcnt vmcnt(10)
	v_mul_f64 v[66:67], v[96:97], v[40:41]
	v_mul_f64 v[40:41], v[94:95], v[40:41]
	v_fma_f64 v[14:15], v[74:75], v[18:19], v[146:147]
	v_fma_f64 v[16:17], v[76:77], v[18:19], -v[20:21]
	v_fma_f64 v[18:19], v[78:79], v[22:23], v[148:149]
	v_fma_f64 v[20:21], v[80:81], v[22:23], -v[24:25]
	s_waitcnt vmcnt(9)
	v_mul_f64 v[68:69], v[100:101], v[44:45]
	v_mul_f64 v[44:45], v[98:99], v[44:45]
	s_waitcnt vmcnt(8)
	v_mul_f64 v[70:71], v[104:105], v[48:49]
	v_mul_f64 v[48:49], v[102:103], v[48:49]
	s_waitcnt vmcnt(7)
	v_mul_f64 v[72:73], v[108:109], v[52:53]
	v_mul_f64 v[52:53], v[106:107], v[52:53]
	s_waitcnt vmcnt(6)
	v_mul_f64 v[74:75], v[112:113], v[56:57]
	v_mul_f64 v[56:57], v[110:111], v[56:57]
	v_fma_f64 v[22:23], v[82:83], v[26:27], v[4:5]
	v_fma_f64 v[24:25], v[84:85], v[26:27], -v[28:29]
	v_fma_f64 v[26:27], v[86:87], v[30:31], v[62:63]
	v_fma_f64 v[28:29], v[88:89], v[30:31], -v[32:33]
	v_fma_f64 v[30:31], v[90:91], v[34:35], v[64:65]
	s_waitcnt vmcnt(4)
	v_mul_f64 v[76:77], v[116:117], v[120:121]
	v_mul_f64 v[78:79], v[114:115], v[120:121]
	s_waitcnt vmcnt(2)
	v_mul_f64 v[80:81], v[124:125], v[128:129]
	v_mul_f64 v[120:121], v[122:123], v[128:129]
	;; [unrolled: 3-line block ×3, first 2 shown]
	v_fma_f64 v[32:33], v[92:93], v[34:35], -v[36:37]
	v_fma_f64 v[34:35], v[94:95], v[38:39], v[66:67]
	v_fma_f64 v[36:37], v[96:97], v[38:39], -v[40:41]
	v_fma_f64 v[38:39], v[98:99], v[42:43], v[68:69]
	;; [unrolled: 2-line block ×8, first 2 shown]
	v_fma_f64 v[68:69], v[136:137], v[130:131], -v[132:133]
	ds_write_b128 v255, v[6:9]
	ds_write_b128 v255, v[0:3] offset:1344
	ds_write_b128 v255, v[58:61] offset:2688
	;; [unrolled: 1-line block ×16, first 2 shown]
.LBB0_3:
	s_or_b32 exec_lo, exec_lo, s1
	s_clause 0x1
	s_load_dwordx2 s[0:1], s[4:5], 0x20
	s_load_dwordx2 s[2:3], s[4:5], 0x8
	s_waitcnt lgkmcnt(0)
	s_waitcnt_vscnt null, 0x0
	s_barrier
	buffer_gl0_inv
                                        ; implicit-def: $vgpr12_vgpr13
                                        ; implicit-def: $vgpr32_vgpr33
                                        ; implicit-def: $vgpr36_vgpr37
                                        ; implicit-def: $vgpr44_vgpr45
                                        ; implicit-def: $vgpr48_vgpr49
                                        ; implicit-def: $vgpr52_vgpr53
                                        ; implicit-def: $vgpr68_vgpr69
                                        ; implicit-def: $vgpr72_vgpr73
                                        ; implicit-def: $vgpr76_vgpr77
                                        ; implicit-def: $vgpr80_vgpr81
                                        ; implicit-def: $vgpr84_vgpr85
                                        ; implicit-def: $vgpr56_vgpr57
                                        ; implicit-def: $vgpr40_vgpr41
                                        ; implicit-def: $vgpr28_vgpr29
                                        ; implicit-def: $vgpr24_vgpr25
                                        ; implicit-def: $vgpr20_vgpr21
                                        ; implicit-def: $vgpr16_vgpr17
	s_and_saveexec_b32 s4, vcc_lo
	s_cbranch_execz .LBB0_5
; %bb.4:
	ds_read_b128 v[12:15], v255
	ds_read_b128 v[32:35], v255 offset:1344
	ds_read_b128 v[36:39], v255 offset:2688
	ds_read_b128 v[44:47], v255 offset:4032
	ds_read_b128 v[48:51], v255 offset:5376
	ds_read_b128 v[52:55], v255 offset:6720
	ds_read_b128 v[68:71], v255 offset:8064
	ds_read_b128 v[72:75], v255 offset:9408
	ds_read_b128 v[76:79], v255 offset:10752
	ds_read_b128 v[80:83], v255 offset:12096
	ds_read_b128 v[84:87], v255 offset:13440
	ds_read_b128 v[56:59], v255 offset:14784
	ds_read_b128 v[40:43], v255 offset:16128
	ds_read_b128 v[28:31], v255 offset:17472
	ds_read_b128 v[24:27], v255 offset:18816
	ds_read_b128 v[20:23], v255 offset:20160
	ds_read_b128 v[16:19], v255 offset:21504
.LBB0_5:
	s_or_b32 exec_lo, exec_lo, s4
	s_waitcnt lgkmcnt(0)
	v_add_f64 v[146:147], v[34:35], -v[18:19]
	v_add_f64 v[158:159], v[32:33], -v[16:17]
	s_mov_b32 s4, 0x5d8e7cdc
	s_mov_b32 s5, 0xbfd71e95
	v_add_f64 v[90:91], v[36:37], -v[20:21]
	s_mov_b32 s8, 0x2a9d6da3
	s_mov_b32 s9, 0xbfe58eea
	v_add_f64 v[100:101], v[46:47], -v[26:27]
	v_add_f64 v[94:95], v[44:45], -v[24:25]
	s_mov_b32 s6, 0x7c9e640b
	s_mov_b32 s7, 0xbfeca52d
	v_add_f64 v[106:107], v[50:51], -v[30:31]
	v_add_f64 v[104:105], v[48:49], -v[28:29]
	s_mov_b32 s20, 0xeb564b22
	s_mov_b32 s21, 0xbfefdd0d
	v_add_f64 v[144:145], v[32:33], v[16:17]
	v_add_f64 v[96:97], v[38:39], -v[22:23]
	v_add_f64 v[156:157], v[34:35], v[18:19]
	s_mov_b32 s16, 0x370991
	s_mov_b32 s17, 0x3fedd6d0
	v_add_f64 v[88:89], v[36:37], v[20:21]
	v_add_f64 v[102:103], v[38:39], v[22:23]
	v_mul_f64 v[0:1], v[146:147], s[4:5]
	v_mul_f64 v[2:3], v[158:159], s[4:5]
	s_mov_b32 s10, 0x75d4884
	s_mov_b32 s11, 0x3fe7a5f6
	v_mul_f64 v[6:7], v[90:91], s[8:9]
	v_add_f64 v[92:93], v[44:45], v[24:25]
	v_add_f64 v[110:111], v[46:47], v[26:27]
	v_mul_f64 v[8:9], v[100:101], s[6:7]
	v_mul_f64 v[62:63], v[94:95], s[6:7]
	s_mov_b32 s18, 0x2b2883cd
	s_mov_b32 s19, 0x3fdc86fa
	v_mul_f64 v[60:61], v[106:107], s[20:21]
	v_mul_f64 v[64:65], v[104:105], s[20:21]
	v_add_f64 v[98:99], v[48:49], v[28:29]
	v_add_f64 v[124:125], v[50:51], v[30:31]
	v_add_f64 v[126:127], v[54:55], -v[42:43]
	v_mul_f64 v[10:11], v[96:97], s[8:9]
	s_mov_b32 s22, 0x3259b75e
	s_mov_b32 s26, 0x923c349f
	;; [unrolled: 1-line block ×4, first 2 shown]
	v_add_f64 v[108:109], v[52:53], v[40:41]
	buffer_store_dword v0, off, s[60:63], 0 offset:76 ; 4-byte Folded Spill
	buffer_store_dword v1, off, s[60:63], 0 offset:80 ; 4-byte Folded Spill
	;; [unrolled: 1-line block ×14, first 2 shown]
	s_mov_b32 s24, 0xc61f0d01
	s_mov_b32 s25, 0xbfd183b1
	v_add_f64 v[118:119], v[52:53], -v[40:41]
	v_fma_f64 v[4:5], v[88:89], s[10:11], v[10:11]
	v_add_f64 v[142:143], v[54:55], v[42:43]
	v_add_f64 v[120:121], v[70:71], -v[58:59]
	s_mov_b32 s34, 0x6c9a05f6
	s_mov_b32 s35, 0xbfe9895b
	v_add_f64 v[116:117], v[68:69], v[56:57]
	s_mov_b32 s30, 0x6ed5f1bb
	s_mov_b32 s31, 0xbfe348c8
	v_add_f64 v[130:131], v[68:69], -v[56:57]
	v_add_f64 v[136:137], v[70:71], v[58:59]
	v_add_f64 v[132:133], v[74:75], -v[86:87]
	s_mov_b32 s40, 0x4363dd80
	s_mov_b32 s41, 0x3fe0d888
	;; [unrolled: 1-line block ×4, first 2 shown]
	v_add_f64 v[112:113], v[72:73], v[84:85]
	s_mov_b32 s38, 0x910ea3b9
	s_mov_b32 s39, 0xbfeb34fa
	v_add_f64 v[128:129], v[72:73], -v[84:85]
	v_add_f64 v[140:141], v[74:75], v[86:87]
	v_add_f64 v[134:135], v[78:79], -v[82:83]
	s_mov_b32 s36, 0xacd6c6b4
	s_mov_b32 s37, 0xbfc7851a
	v_add_f64 v[114:115], v[76:77], v[80:81]
	v_mul_f64 v[249:250], v[120:121], s[34:35]
	s_mov_b32 s28, 0x7faef3
	s_mov_b32 s29, 0xbfef7484
	v_add_f64 v[122:123], v[76:77], -v[80:81]
	v_add_f64 v[138:139], v[78:79], v[82:83]
	v_mul_f64 v[194:195], v[146:147], s[8:9]
	v_mul_f64 v[196:197], v[158:159], s[8:9]
	;; [unrolled: 1-line block ×4, first 2 shown]
	s_mov_b32 s43, 0x3feec746
	s_mov_b32 s42, s26
	;; [unrolled: 1-line block ×3, first 2 shown]
	v_mul_f64 v[213:214], v[120:121], s[42:43]
	v_mul_f64 v[227:228], v[130:131], s[42:43]
	s_mov_b32 s44, s6
	s_mov_b32 s51, 0x3fd71e95
	v_mul_f64 v[215:216], v[132:133], s[44:45]
	v_mul_f64 v[229:230], v[128:129], s[44:45]
	s_mov_b32 s50, s4
	v_mul_f64 v[198:199], v[146:147], s[6:7]
	v_mul_f64 v[217:218], v[134:135], s[50:51]
	;; [unrolled: 1-line block ×4, first 2 shown]
	s_mov_b32 s47, 0x3fc7851a
	s_mov_b32 s46, s36
	v_mul_f64 v[231:232], v[122:123], s[50:51]
	v_mul_f64 v[223:224], v[100:101], s[46:47]
	;; [unrolled: 1-line block ×5, first 2 shown]
	s_mov_b32 s49, 0x3fe58eea
	s_mov_b32 s48, s8
	v_mul_f64 v[247:248], v[120:121], s[4:5]
	v_mul_f64 v[245:246], v[126:127], s[48:49]
	;; [unrolled: 1-line block ×20, first 2 shown]
	s_mov_b32 s57, 0x3fe9895b
	s_mov_b32 s56, s34
	v_mul_f64 v[160:161], v[134:135], s[48:49]
	v_mul_f64 v[166:167], v[132:133], s[56:57]
	;; [unrolled: 1-line block ×12, first 2 shown]
	s_mov_b32 s55, 0x3fefdd0d
	s_mov_b32 s54, s20
	v_mul_f64 v[192:193], v[130:131], s[54:55]
	v_fma_f64 v[0:1], v[144:145], s[16:17], v[0:1]
	v_fma_f64 v[2:3], v[156:157], s[16:17], -v[2:3]
	v_fma_f64 v[6:7], v[102:103], s[10:11], -v[6:7]
	v_fma_f64 v[8:9], v[92:93], s[18:19], v[8:9]
	v_add_f64 v[0:1], v[12:13], v[0:1]
	v_add_f64 v[2:3], v[14:15], v[2:3]
	v_add_f64 v[0:1], v[4:5], v[0:1]
	v_add_f64 v[2:3], v[6:7], v[2:3]
	v_fma_f64 v[4:5], v[110:111], s[18:19], -v[62:63]
	v_fma_f64 v[6:7], v[98:99], s[22:23], v[60:61]
	v_add_f64 v[0:1], v[8:9], v[0:1]
	v_mul_f64 v[8:9], v[126:127], s[26:27]
	v_add_f64 v[2:3], v[4:5], v[2:3]
	v_fma_f64 v[4:5], v[124:125], s[22:23], -v[64:65]
	v_add_f64 v[0:1], v[6:7], v[0:1]
	v_add_f64 v[2:3], v[4:5], v[2:3]
	v_fma_f64 v[4:5], v[108:109], s[24:25], v[8:9]
	v_add_f64 v[0:1], v[4:5], v[0:1]
	v_mul_f64 v[4:5], v[118:119], s[26:27]
	buffer_store_dword v4, off, s[60:63], 0 offset:188 ; 4-byte Folded Spill
	buffer_store_dword v5, off, s[60:63], 0 offset:192 ; 4-byte Folded Spill
	v_fma_f64 v[4:5], v[142:143], s[24:25], -v[4:5]
	v_add_f64 v[2:3], v[4:5], v[2:3]
	v_fma_f64 v[4:5], v[116:117], s[30:31], v[249:250]
	v_add_f64 v[0:1], v[4:5], v[0:1]
	v_mul_f64 v[4:5], v[130:131], s[34:35]
	buffer_store_dword v4, off, s[60:63], 0 offset:220 ; 4-byte Folded Spill
	buffer_store_dword v5, off, s[60:63], 0 offset:224 ; 4-byte Folded Spill
	v_fma_f64 v[4:5], v[136:137], s[30:31], -v[4:5]
	v_add_f64 v[2:3], v[4:5], v[2:3]
	v_mul_f64 v[4:5], v[132:133], s[52:53]
	buffer_store_dword v4, off, s[60:63], 0 offset:204 ; 4-byte Folded Spill
	buffer_store_dword v5, off, s[60:63], 0 offset:208 ; 4-byte Folded Spill
	v_fma_f64 v[4:5], v[112:113], s[38:39], v[4:5]
	v_add_f64 v[0:1], v[4:5], v[0:1]
	v_mul_f64 v[4:5], v[128:129], s[52:53]
	buffer_store_dword v4, off, s[60:63], 0 offset:252 ; 4-byte Folded Spill
	buffer_store_dword v5, off, s[60:63], 0 offset:256 ; 4-byte Folded Spill
	v_fma_f64 v[4:5], v[140:141], s[38:39], -v[4:5]
	v_add_f64 v[2:3], v[4:5], v[2:3]
	v_mul_f64 v[4:5], v[134:135], s[36:37]
	buffer_store_dword v4, off, s[60:63], 0 offset:236 ; 4-byte Folded Spill
	buffer_store_dword v5, off, s[60:63], 0 offset:240 ; 4-byte Folded Spill
	v_fma_f64 v[4:5], v[114:115], s[28:29], v[4:5]
	v_add_f64 v[4:5], v[4:5], v[0:1]
	v_mul_f64 v[0:1], v[122:123], s[36:37]
	buffer_store_dword v0, off, s[60:63], 0 offset:276 ; 4-byte Folded Spill
	buffer_store_dword v1, off, s[60:63], 0 offset:280 ; 4-byte Folded Spill
	v_fma_f64 v[0:1], v[138:139], s[28:29], -v[0:1]
	v_add_f64 v[6:7], v[0:1], v[2:3]
	v_mul_f64 v[2:3], v[96:97], s[20:21]
	v_fma_f64 v[0:1], v[144:145], s[10:11], v[194:195]
	buffer_store_dword v4, off, s[60:63], 0 offset:12 ; 4-byte Folded Spill
	buffer_store_dword v5, off, s[60:63], 0 offset:16 ; 4-byte Folded Spill
	;; [unrolled: 1-line block ×6, first 2 shown]
	v_mul_f64 v[4:5], v[90:91], s[20:21]
	v_add_f64 v[0:1], v[12:13], v[0:1]
	buffer_store_dword v4, off, s[60:63], 0 offset:292 ; 4-byte Folded Spill
	buffer_store_dword v5, off, s[60:63], 0 offset:296 ; 4-byte Folded Spill
	v_fma_f64 v[2:3], v[88:89], s[22:23], v[2:3]
	v_add_f64 v[0:1], v[2:3], v[0:1]
	v_fma_f64 v[2:3], v[156:157], s[10:11], -v[196:197]
	v_fma_f64 v[4:5], v[102:103], s[22:23], -v[4:5]
	v_add_f64 v[2:3], v[14:15], v[2:3]
	v_add_f64 v[2:3], v[4:5], v[2:3]
	v_mul_f64 v[4:5], v[100:101], s[34:35]
	buffer_store_dword v4, off, s[60:63], 0 offset:284 ; 4-byte Folded Spill
	buffer_store_dword v5, off, s[60:63], 0 offset:288 ; 4-byte Folded Spill
	v_fma_f64 v[4:5], v[92:93], s[30:31], v[4:5]
	v_add_f64 v[0:1], v[4:5], v[0:1]
	v_mul_f64 v[4:5], v[94:95], s[34:35]
	buffer_store_dword v4, off, s[60:63], 0 offset:308 ; 4-byte Folded Spill
	buffer_store_dword v5, off, s[60:63], 0 offset:312 ; 4-byte Folded Spill
	v_fma_f64 v[4:5], v[110:111], s[30:31], -v[4:5]
	v_add_f64 v[2:3], v[4:5], v[2:3]
	v_mul_f64 v[4:5], v[106:107], s[36:37]
	buffer_store_dword v4, off, s[60:63], 0 offset:300 ; 4-byte Folded Spill
	buffer_store_dword v5, off, s[60:63], 0 offset:304 ; 4-byte Folded Spill
	v_fma_f64 v[4:5], v[98:99], s[28:29], v[4:5]
	v_add_f64 v[0:1], v[4:5], v[0:1]
	v_fma_f64 v[4:5], v[124:125], s[28:29], -v[219:220]
	v_add_f64 v[2:3], v[4:5], v[2:3]
	v_mul_f64 v[4:5], v[126:127], s[40:41]
	buffer_store_dword v4, off, s[60:63], 0 offset:316 ; 4-byte Folded Spill
	buffer_store_dword v5, off, s[60:63], 0 offset:320 ; 4-byte Folded Spill
	v_fma_f64 v[4:5], v[108:109], s[38:39], v[4:5]
	v_add_f64 v[0:1], v[4:5], v[0:1]
	v_fma_f64 v[4:5], v[142:143], s[38:39], -v[221:222]
	v_add_f64 v[2:3], v[4:5], v[2:3]
	v_fma_f64 v[4:5], v[116:117], s[24:25], v[213:214]
	v_add_f64 v[0:1], v[4:5], v[0:1]
	v_fma_f64 v[4:5], v[136:137], s[24:25], -v[227:228]
	v_add_f64 v[2:3], v[4:5], v[2:3]
	;; [unrolled: 4-line block ×4, first 2 shown]
	v_mul_f64 v[2:3], v[96:97], s[34:35]
	buffer_store_dword v4, off, s[60:63], 0 offset:28 ; 4-byte Folded Spill
	buffer_store_dword v5, off, s[60:63], 0 offset:32 ; 4-byte Folded Spill
	;; [unrolled: 1-line block ×6, first 2 shown]
	v_fma_f64 v[0:1], v[144:145], s[18:19], v[198:199]
	v_fma_f64 v[4:5], v[102:103], s[30:31], -v[235:236]
	v_add_f64 v[0:1], v[12:13], v[0:1]
	v_fma_f64 v[2:3], v[88:89], s[30:31], v[2:3]
	v_add_f64 v[0:1], v[2:3], v[0:1]
	v_fma_f64 v[2:3], v[156:157], s[18:19], -v[200:201]
	v_add_f64 v[2:3], v[14:15], v[2:3]
	v_add_f64 v[2:3], v[4:5], v[2:3]
	v_fma_f64 v[4:5], v[92:93], s[28:29], v[223:224]
	v_add_f64 v[0:1], v[4:5], v[0:1]
	v_fma_f64 v[4:5], v[110:111], s[28:29], -v[210:211]
	v_add_f64 v[2:3], v[4:5], v[2:3]
	v_fma_f64 v[4:5], v[98:99], s[24:25], v[233:234]
	v_add_f64 v[0:1], v[4:5], v[0:1]
	v_fma_f64 v[4:5], v[124:125], s[24:25], -v[251:252]
	;; [unrolled: 4-line block ×6, first 2 shown]
	v_add_f64 v[6:7], v[0:1], v[2:3]
	v_fma_f64 v[0:1], v[144:145], s[22:23], v[202:203]
	v_fma_f64 v[2:3], v[88:89], s[28:29], v[225:226]
	buffer_store_dword v4, off, s[60:63], 0 offset:44 ; 4-byte Folded Spill
	buffer_store_dword v5, off, s[60:63], 0 offset:48 ; 4-byte Folded Spill
	;; [unrolled: 1-line block ×4, first 2 shown]
	v_add_f64 v[0:1], v[12:13], v[0:1]
	v_fma_f64 v[4:5], v[102:103], s[28:29], -v[150:151]
	v_mul_f64 v[6:7], v[106:107], s[6:7]
	v_add_f64 v[0:1], v[2:3], v[0:1]
	v_fma_f64 v[2:3], v[156:157], s[22:23], -v[204:205]
	v_add_f64 v[2:3], v[14:15], v[2:3]
	v_add_f64 v[2:3], v[4:5], v[2:3]
	v_fma_f64 v[4:5], v[92:93], s[24:25], v[243:244]
	v_add_f64 v[0:1], v[4:5], v[0:1]
	v_fma_f64 v[4:5], v[110:111], s[24:25], -v[168:169]
	v_add_f64 v[2:3], v[4:5], v[2:3]
	v_fma_f64 v[4:5], v[98:99], s[16:17], v[253:254]
	v_add_f64 v[0:1], v[4:5], v[0:1]
	v_fma_f64 v[4:5], v[124:125], s[16:17], -v[174:175]
	;; [unrolled: 4-line block ×6, first 2 shown]
	v_fma_f64 v[4:5], v[102:103], s[38:39], -v[176:177]
	v_add_f64 v[62:63], v[0:1], v[2:3]
	v_fma_f64 v[0:1], v[144:145], s[24:25], v[206:207]
	v_fma_f64 v[2:3], v[88:89], s[38:39], v[237:238]
	v_add_f64 v[0:1], v[12:13], v[0:1]
	v_add_f64 v[0:1], v[2:3], v[0:1]
	v_fma_f64 v[2:3], v[156:157], s[24:25], -v[208:209]
	v_add_f64 v[2:3], v[14:15], v[2:3]
	v_add_f64 v[2:3], v[4:5], v[2:3]
	v_fma_f64 v[4:5], v[92:93], s[10:11], v[148:149]
	v_add_f64 v[0:1], v[4:5], v[0:1]
	v_fma_f64 v[4:5], v[110:111], s[10:11], -v[184:185]
	v_add_f64 v[2:3], v[4:5], v[2:3]
	v_fma_f64 v[4:5], v[98:99], s[18:19], v[6:7]
	v_add_f64 v[0:1], v[4:5], v[0:1]
	v_fma_f64 v[4:5], v[124:125], s[18:19], -v[186:187]
	v_add_f64 v[2:3], v[4:5], v[2:3]
	v_mul_f64 v[4:5], v[126:127], s[36:37]
	buffer_store_dword v4, off, s[60:63], 0 offset:132 ; 4-byte Folded Spill
	buffer_store_dword v5, off, s[60:63], 0 offset:136 ; 4-byte Folded Spill
	v_fma_f64 v[4:5], v[108:109], s[28:29], v[4:5]
	v_add_f64 v[0:1], v[4:5], v[0:1]
	v_fma_f64 v[4:5], v[142:143], s[28:29], -v[188:189]
	v_add_f64 v[2:3], v[4:5], v[2:3]
	v_mul_f64 v[4:5], v[120:121], s[54:55]
	buffer_store_dword v4, off, s[60:63], 0 offset:140 ; 4-byte Folded Spill
	buffer_store_dword v5, off, s[60:63], 0 offset:144 ; 4-byte Folded Spill
	;; [unrolled: 7-line block ×3, first 2 shown]
	v_fma_f64 v[4:5], v[112:113], s[16:17], v[4:5]
	v_add_f64 v[0:1], v[4:5], v[0:1]
	v_mul_f64 v[4:5], v[128:129], s[4:5]
	buffer_store_dword v4, off, s[60:63], 0 offset:172 ; 4-byte Folded Spill
	buffer_store_dword v5, off, s[60:63], 0 offset:176 ; 4-byte Folded Spill
	v_fma_f64 v[4:5], v[140:141], s[16:17], -v[4:5]
	v_add_f64 v[2:3], v[4:5], v[2:3]
	v_mul_f64 v[4:5], v[134:135], s[34:35]
	buffer_store_dword v4, off, s[60:63], 0 offset:156 ; 4-byte Folded Spill
	buffer_store_dword v5, off, s[60:63], 0 offset:160 ; 4-byte Folded Spill
	s_waitcnt_vscnt null, 0x0
	s_barrier
	buffer_gl0_inv
	v_fma_f64 v[4:5], v[114:115], s[30:31], v[4:5]
	v_add_f64 v[64:65], v[4:5], v[0:1]
	v_mul_f64 v[4:5], v[122:123], s[34:35]
	v_fma_f64 v[0:1], v[138:139], s[30:31], -v[4:5]
	v_add_f64 v[66:67], v[0:1], v[2:3]
	s_and_saveexec_b32 s33, vcc_lo
	s_cbranch_execz .LBB0_7
; %bb.6:
	v_add_f64 v[2:3], v[12:13], v[32:33]
	v_add_f64 v[0:1], v[14:15], v[34:35]
	;; [unrolled: 1-line block ×6, first 2 shown]
	v_mul_f64 v[44:45], v[146:147], s[52:53]
	v_mul_f64 v[46:47], v[146:147], s[34:35]
	v_add_f64 v[2:3], v[2:3], v[48:49]
	v_add_f64 v[0:1], v[0:1], v[50:51]
	v_fma_f64 v[50:51], v[144:145], s[38:39], v[44:45]
	v_fma_f64 v[44:45], v[144:145], s[38:39], -v[44:45]
	v_add_f64 v[2:3], v[2:3], v[52:53]
	v_add_f64 v[0:1], v[0:1], v[54:55]
	v_mul_f64 v[54:55], v[144:145], s[16:17]
	v_fma_f64 v[52:53], v[144:145], s[30:31], v[46:47]
	v_fma_f64 v[46:47], v[144:145], s[30:31], -v[46:47]
	v_add_f64 v[50:51], v[12:13], v[50:51]
	v_add_f64 v[44:45], v[12:13], v[44:45]
	;; [unrolled: 1-line block ×4, first 2 shown]
	v_mul_f64 v[68:69], v[124:125], s[22:23]
	v_mul_f64 v[70:71], v[98:99], s[22:23]
	v_add_f64 v[46:47], v[12:13], v[46:47]
	v_add_f64 v[2:3], v[2:3], v[72:73]
	v_add_f64 v[0:1], v[0:1], v[74:75]
	v_mul_f64 v[72:73], v[142:143], s[24:25]
	v_mul_f64 v[74:75], v[108:109], s[24:25]
	v_add_f64 v[2:3], v[2:3], v[76:77]
	v_add_f64 v[0:1], v[0:1], v[78:79]
	v_mov_b32_e32 v77, v9
	v_mov_b32_e32 v76, v8
	s_clause 0x1
	buffer_load_dword v8, off, s[60:63], 0 offset:92
	buffer_load_dword v9, off, s[60:63], 0 offset:96
	v_mul_f64 v[78:79], v[116:117], s[30:31]
	v_add_f64 v[74:75], v[74:75], -v[76:77]
	v_mul_f64 v[76:77], v[136:137], s[30:31]
	v_add_f64 v[2:3], v[2:3], v[80:81]
	v_add_f64 v[0:1], v[0:1], v[82:83]
	v_mov_b32_e32 v80, v249
	v_mov_b32_e32 v81, v250
	;; [unrolled: 1-line block ×4, first 2 shown]
	v_mul_f64 v[4:5], v[156:157], s[38:39]
	v_mul_f64 v[82:83], v[112:113], s[38:39]
	v_add_f64 v[78:79], v[78:79], -v[80:81]
	v_mul_f64 v[80:81], v[140:141], s[38:39]
	v_add_f64 v[2:3], v[2:3], v[84:85]
	v_add_f64 v[0:1], v[0:1], v[86:87]
	v_mul_f64 v[84:85], v[138:139], s[28:29]
	v_mul_f64 v[86:87], v[114:115], s[28:29]
	v_add_f64 v[2:3], v[2:3], v[56:57]
	v_add_f64 v[0:1], v[0:1], v[58:59]
	v_mov_b32_e32 v59, v11
	v_mov_b32_e32 v58, v10
	;; [unrolled: 1-line block ×4, first 2 shown]
	v_fma_f64 v[6:7], v[158:159], s[40:41], v[4:5]
	v_fma_f64 v[4:5], v[158:159], s[52:53], v[4:5]
	v_add_f64 v[2:3], v[2:3], v[40:41]
	v_add_f64 v[0:1], v[0:1], v[42:43]
	v_add_f64 v[6:7], v[14:15], v[6:7]
	v_add_f64 v[4:5], v[14:15], v[4:5]
	v_add_f64 v[2:3], v[2:3], v[28:29]
	v_add_f64 v[0:1], v[0:1], v[30:31]
	v_add_f64 v[2:3], v[2:3], v[24:25]
	v_add_f64 v[0:1], v[0:1], v[26:27]
	v_add_f64 v[2:3], v[2:3], v[20:21]
	v_mul_f64 v[20:21], v[156:157], s[30:31]
	v_add_f64 v[0:1], v[0:1], v[22:23]
	v_add_f64 v[16:17], v[2:3], v[16:17]
	v_fma_f64 v[22:23], v[158:159], s[56:57], v[20:21]
	v_fma_f64 v[24:25], v[158:159], s[34:35], v[20:21]
	v_mul_f64 v[20:21], v[156:157], s[24:25]
	v_add_f64 v[18:19], v[0:1], v[18:19]
	v_mul_f64 v[0:1], v[156:157], s[28:29]
	v_add_f64 v[24:25], v[14:15], v[24:25]
	v_add_f64 v[26:27], v[208:209], v[20:21]
	v_mul_f64 v[20:21], v[144:145], s[24:25]
	v_fma_f64 v[2:3], v[158:159], s[46:47], v[0:1]
	v_fma_f64 v[0:1], v[158:159], s[36:37], v[0:1]
	v_mul_f64 v[158:159], v[92:93], s[30:31]
	v_mul_f64 v[208:209], v[112:113], s[18:19]
	v_add_f64 v[26:27], v[14:15], v[26:27]
	v_add_f64 v[28:29], v[20:21], -v[206:207]
	v_mul_f64 v[20:21], v[156:157], s[22:23]
	v_add_f64 v[2:3], v[14:15], v[2:3]
	v_add_f64 v[0:1], v[14:15], v[0:1]
	v_add_f64 v[208:209], v[208:209], -v[215:216]
	v_mul_f64 v[215:216], v[114:115], s[16:17]
	v_mul_f64 v[206:207], v[140:141], s[18:19]
	v_add_f64 v[28:29], v[12:13], v[28:29]
	v_add_f64 v[30:31], v[204:205], v[20:21]
	v_mul_f64 v[20:21], v[144:145], s[22:23]
	v_mul_f64 v[204:205], v[116:117], s[24:25]
	v_add_f64 v[215:216], v[215:216], -v[217:218]
	v_mul_f64 v[217:218], v[102:103], s[30:31]
	v_add_f64 v[206:207], v[229:230], v[206:207]
	v_mul_f64 v[229:230], v[108:109], s[10:11]
	v_add_f64 v[30:31], v[14:15], v[30:31]
	v_add_f64 v[32:33], v[20:21], -v[202:203]
	v_mul_f64 v[20:21], v[156:157], s[18:19]
	v_add_f64 v[204:205], v[204:205], -v[213:214]
	v_mul_f64 v[213:214], v[138:139], s[16:17]
	v_add_f64 v[217:218], v[235:236], v[217:218]
	v_mul_f64 v[235:236], v[138:139], s[38:39]
	v_add_f64 v[229:230], v[229:230], -v[245:246]
	v_mul_f64 v[202:203], v[136:137], s[24:25]
	v_add_f64 v[32:33], v[12:13], v[32:33]
	v_add_f64 v[34:35], v[200:201], v[20:21]
	v_mul_f64 v[20:21], v[144:145], s[18:19]
	v_mul_f64 v[200:201], v[108:109], s[38:39]
	v_add_f64 v[213:214], v[231:232], v[213:214]
	v_add_f64 v[152:153], v[152:153], v[235:236]
	v_mul_f64 v[235:236], v[114:115], s[38:39]
	v_mul_f64 v[231:232], v[136:137], s[16:17]
	v_add_f64 v[202:203], v[227:228], v[202:203]
	v_mul_f64 v[227:228], v[92:93], s[28:29]
	v_add_f64 v[34:35], v[14:15], v[34:35]
	v_add_f64 v[36:37], v[20:21], -v[198:199]
	v_mul_f64 v[20:21], v[156:157], s[10:11]
	v_mul_f64 v[198:199], v[142:143], s[38:39]
	v_add_f64 v[235:236], v[235:236], -v[239:240]
	v_mul_f64 v[239:240], v[142:143], s[18:19]
	v_add_f64 v[162:163], v[162:163], v[231:232]
	v_mul_f64 v[231:232], v[116:117], s[16:17]
	v_add_f64 v[223:224], v[227:228], -v[223:224]
	v_mul_f64 v[227:228], v[98:99], s[24:25]
	v_add_f64 v[34:35], v[217:218], v[34:35]
	v_add_f64 v[36:37], v[12:13], v[36:37]
	;; [unrolled: 1-line block ×3, first 2 shown]
	v_mul_f64 v[20:21], v[144:145], s[10:11]
	v_mul_f64 v[196:197], v[98:99], s[28:29]
	v_add_f64 v[198:199], v[221:222], v[198:199]
	v_add_f64 v[190:191], v[190:191], v[239:240]
	v_mul_f64 v[239:240], v[102:103], s[28:29]
	v_mul_f64 v[221:222], v[88:89], s[30:31]
	v_add_f64 v[231:232], v[231:232], -v[247:248]
	v_add_f64 v[227:228], v[227:228], -v[233:234]
	v_mul_f64 v[233:234], v[140:141], s[22:23]
	v_add_f64 v[38:39], v[14:15], v[38:39]
	v_add_f64 v[40:41], v[20:21], -v[194:195]
	v_mul_f64 v[20:21], v[156:157], s[16:17]
	v_mul_f64 v[156:157], v[110:111], s[30:31]
	;; [unrolled: 1-line block ×3, first 2 shown]
	v_add_f64 v[150:151], v[150:151], v[239:240]
	v_mul_f64 v[239:240], v[110:111], s[24:25]
	v_add_f64 v[154:155], v[154:155], v[233:234]
	v_mul_f64 v[233:234], v[112:113], s[22:23]
	v_add_f64 v[40:41], v[12:13], v[40:41]
	s_waitcnt vmcnt(0)
	v_add_f64 v[42:43], v[8:9], v[20:21]
	s_clause 0x1
	buffer_load_dword v8, off, s[60:63], 0 offset:76
	buffer_load_dword v9, off, s[60:63], 0 offset:80
	v_mul_f64 v[20:21], v[146:147], s[36:37]
	v_mul_f64 v[146:147], v[88:89], s[22:23]
	v_add_f64 v[168:169], v[168:169], v[239:240]
	v_mul_f64 v[239:240], v[124:125], s[16:17]
	v_add_f64 v[194:195], v[219:220], v[194:195]
	;; [unrolled: 2-line block ×3, first 2 shown]
	v_add_f64 v[233:234], v[233:234], -v[241:242]
	v_mul_f64 v[241:242], v[108:109], s[18:19]
	v_fma_f64 v[48:49], v[144:145], s[28:29], v[20:21]
	v_fma_f64 v[20:21], v[144:145], s[28:29], -v[20:21]
	v_mul_f64 v[144:145], v[102:103], s[22:23]
	v_add_f64 v[174:175], v[174:175], v[239:240]
	v_mul_f64 v[239:240], v[88:89], s[28:29]
	v_add_f64 v[219:220], v[210:211], v[219:220]
	v_add_f64 v[30:31], v[168:169], v[30:31]
	v_add_f64 v[170:171], v[241:242], -v[170:171]
	v_mul_f64 v[241:242], v[98:99], s[16:17]
	v_add_f64 v[48:49], v[12:13], v[48:49]
	v_add_f64 v[56:57], v[12:13], v[20:21]
	;; [unrolled: 1-line block ×4, first 2 shown]
	v_mul_f64 v[42:43], v[102:103], s[10:11]
	v_add_f64 v[22:23], v[12:13], v[52:53]
	v_mul_f64 v[52:53], v[88:89], s[10:11]
	v_add_f64 v[225:226], v[239:240], -v[225:226]
	v_mul_f64 v[239:240], v[92:93], s[24:25]
	v_add_f64 v[30:31], v[174:175], v[30:31]
	v_add_f64 v[241:242], v[241:242], -v[253:254]
	v_add_f64 v[34:35], v[219:220], v[34:35]
	v_add_f64 v[52:53], v[52:53], -v[58:59]
	v_mul_f64 v[58:59], v[92:93], s[18:19]
	v_add_f64 v[239:240], v[239:240], -v[243:244]
	v_mul_f64 v[243:244], v[136:137], s[38:39]
	v_add_f64 v[30:31], v[190:191], v[30:31]
	v_add_f64 v[32:33], v[225:226], v[32:33]
	;; [unrolled: 1-line block ×3, first 2 shown]
	v_mul_f64 v[243:244], v[116:117], s[38:39]
	v_add_f64 v[32:33], v[239:240], v[32:33]
	v_add_f64 v[30:31], v[180:181], v[30:31]
	v_add_f64 v[164:165], v[243:244], -v[164:165]
	v_mul_f64 v[243:244], v[140:141], s[30:31]
	v_add_f64 v[32:33], v[241:242], v[32:33]
	v_add_f64 v[182:183], v[182:183], v[243:244]
	v_mul_f64 v[243:244], v[112:113], s[30:31]
	v_add_f64 v[32:33], v[170:171], v[32:33]
	v_add_f64 v[166:167], v[243:244], -v[166:167]
	v_mul_f64 v[243:244], v[138:139], s[10:11]
	v_add_f64 v[32:33], v[164:165], v[32:33]
	v_add_f64 v[178:179], v[178:179], v[243:244]
	v_mul_f64 v[243:244], v[114:115], s[10:11]
	v_add_f64 v[160:161], v[243:244], -v[160:161]
	v_mul_f64 v[243:244], v[136:137], s[22:23]
	v_add_f64 v[192:193], v[192:193], v[243:244]
	v_mul_f64 v[243:244], v[102:103], s[38:39]
	v_add_f64 v[176:177], v[176:177], v[243:244]
	;; [unrolled: 2-line block ×3, first 2 shown]
	v_add_f64 v[184:185], v[184:185], v[243:244]
	v_mul_f64 v[243:244], v[124:125], s[18:19]
	v_add_f64 v[26:27], v[184:185], v[26:27]
	v_add_f64 v[186:187], v[186:187], v[243:244]
	v_mul_f64 v[243:244], v[142:143], s[28:29]
	s_waitcnt vmcnt(0)
	v_add_f64 v[54:55], v[54:55], -v[8:9]
	s_clause 0x1
	buffer_load_dword v8, off, s[60:63], 0 offset:68
	buffer_load_dword v9, off, s[60:63], 0 offset:72
	v_add_f64 v[26:27], v[186:187], v[26:27]
	v_add_f64 v[188:189], v[188:189], v[243:244]
	v_mul_f64 v[243:244], v[88:89], s[38:39]
	v_add_f64 v[12:13], v[12:13], v[54:55]
	v_mul_f64 v[54:55], v[110:111], s[18:19]
	v_add_f64 v[237:238], v[243:244], -v[237:238]
	v_mul_f64 v[243:244], v[92:93], s[10:11]
	v_add_f64 v[12:13], v[52:53], v[12:13]
	v_add_f64 v[28:29], v[237:238], v[28:29]
	v_add_f64 v[148:149], v[243:244], -v[148:149]
	v_mul_f64 v[243:244], v[102:103], s[16:17]
	v_fma_f64 v[245:246], v[90:91], s[4:5], v[243:244]
	v_fma_f64 v[243:244], v[90:91], s[50:51], v[243:244]
	v_add_f64 v[2:3], v[245:246], v[2:3]
	v_add_f64 v[0:1], v[243:244], v[0:1]
	v_mul_f64 v[245:246], v[96:97], s[50:51]
	v_fma_f64 v[243:244], v[88:89], s[16:17], -v[245:246]
	v_fma_f64 v[247:248], v[88:89], s[16:17], v[245:246]
	v_add_f64 v[56:57], v[243:244], v[56:57]
	v_add_f64 v[48:49], v[247:248], v[48:49]
	s_waitcnt vmcnt(0)
	v_add_f64 v[42:43], v[8:9], v[42:43]
	s_clause 0x1
	buffer_load_dword v8, off, s[60:63], 0 offset:116
	buffer_load_dword v9, off, s[60:63], 0 offset:120
	v_add_f64 v[14:15], v[42:43], v[14:15]
	v_mul_f64 v[42:43], v[110:111], s[38:39]
	v_fma_f64 v[52:53], v[94:95], s[40:41], v[42:43]
	v_fma_f64 v[42:43], v[94:95], s[52:53], v[42:43]
	v_add_f64 v[2:3], v[52:53], v[2:3]
	v_mul_f64 v[52:53], v[100:101], s[52:53]
	v_add_f64 v[0:1], v[42:43], v[0:1]
	v_fma_f64 v[42:43], v[92:93], s[38:39], -v[52:53]
	v_add_f64 v[42:43], v[42:43], v[56:57]
	s_waitcnt vmcnt(0)
	v_add_f64 v[54:55], v[8:9], v[54:55]
	s_clause 0x1
	buffer_load_dword v8, off, s[60:63], 0 offset:60
	buffer_load_dword v9, off, s[60:63], 0 offset:64
	v_add_f64 v[14:15], v[54:55], v[14:15]
	s_waitcnt vmcnt(0)
	v_add_f64 v[58:59], v[58:59], -v[8:9]
	s_clause 0x1
	buffer_load_dword v8, off, s[60:63], 0 offset:124
	buffer_load_dword v9, off, s[60:63], 0 offset:128
	v_add_f64 v[12:13], v[58:59], v[12:13]
	v_add_f64 v[58:59], v[166:167], v[32:33]
	s_waitcnt vmcnt(0)
	v_add_f64 v[68:69], v[8:9], v[68:69]
	s_clause 0x1
	buffer_load_dword v8, off, s[60:63], 0 offset:108
	buffer_load_dword v9, off, s[60:63], 0 offset:112
	v_add_f64 v[14:15], v[68:69], v[14:15]
	s_waitcnt vmcnt(0)
	v_add_f64 v[70:71], v[70:71], -v[8:9]
	s_clause 0x1
	buffer_load_dword v8, off, s[60:63], 0 offset:188
	buffer_load_dword v9, off, s[60:63], 0 offset:192
	v_add_f64 v[12:13], v[70:71], v[12:13]
	v_add_f64 v[12:13], v[74:75], v[12:13]
	;; [unrolled: 1-line block ×3, first 2 shown]
	s_waitcnt vmcnt(0)
	v_add_f64 v[72:73], v[8:9], v[72:73]
	s_clause 0x1
	buffer_load_dword v8, off, s[60:63], 0 offset:220
	buffer_load_dword v9, off, s[60:63], 0 offset:224
	v_add_f64 v[14:15], v[72:73], v[14:15]
	s_waitcnt vmcnt(0)
	v_add_f64 v[76:77], v[8:9], v[76:77]
	s_clause 0x1
	buffer_load_dword v8, off, s[60:63], 0 offset:252
	buffer_load_dword v9, off, s[60:63], 0 offset:256
	v_add_f64 v[14:15], v[76:77], v[14:15]
	s_waitcnt vmcnt(0)
	v_add_f64 v[80:81], v[8:9], v[80:81]
	s_clause 0x1
	buffer_load_dword v8, off, s[60:63], 0 offset:204
	buffer_load_dword v9, off, s[60:63], 0 offset:208
	s_waitcnt vmcnt(0)
	v_add_f64 v[82:83], v[82:83], -v[8:9]
	s_clause 0x1
	buffer_load_dword v8, off, s[60:63], 0 offset:276
	buffer_load_dword v9, off, s[60:63], 0 offset:280
	s_waitcnt vmcnt(0)
	v_add_f64 v[84:85], v[8:9], v[84:85]
	s_clause 0x1
	buffer_load_dword v8, off, s[60:63], 0 offset:236
	buffer_load_dword v9, off, s[60:63], 0 offset:240
	s_waitcnt vmcnt(0)
	v_add_f64 v[86:87], v[86:87], -v[8:9]
	s_clause 0x1
	buffer_load_dword v8, off, s[60:63], 0 offset:292
	buffer_load_dword v9, off, s[60:63], 0 offset:296
	s_waitcnt vmcnt(0)
	v_add_f64 v[144:145], v[8:9], v[144:145]
	s_clause 0x1
	buffer_load_dword v8, off, s[60:63], 0 offset:268
	buffer_load_dword v9, off, s[60:63], 0 offset:272
	v_add_f64 v[38:39], v[144:145], v[38:39]
	v_fma_f64 v[144:145], v[92:93], s[38:39], v[52:53]
	v_mul_f64 v[52:53], v[124:125], s[10:11]
	v_add_f64 v[48:49], v[144:145], v[48:49]
	v_fma_f64 v[54:55], v[104:105], s[8:9], v[52:53]
	v_fma_f64 v[52:53], v[104:105], s[48:49], v[52:53]
	v_add_f64 v[2:3], v[54:55], v[2:3]
	v_mul_f64 v[54:55], v[106:107], s[48:49]
	v_add_f64 v[0:1], v[52:53], v[0:1]
	v_fma_f64 v[52:53], v[98:99], s[10:11], -v[54:55]
	v_fma_f64 v[56:57], v[98:99], s[10:11], v[54:55]
	v_add_f64 v[42:43], v[52:53], v[42:43]
	v_mul_f64 v[52:53], v[142:143], s[30:31]
	v_add_f64 v[48:49], v[56:57], v[48:49]
	v_fma_f64 v[54:55], v[118:119], s[56:57], v[52:53]
	v_fma_f64 v[52:53], v[118:119], s[34:35], v[52:53]
	v_add_f64 v[2:3], v[54:55], v[2:3]
	v_mul_f64 v[54:55], v[126:127], s[34:35]
	v_add_f64 v[0:1], v[52:53], v[0:1]
	v_fma_f64 v[52:53], v[108:109], s[30:31], -v[54:55]
	v_fma_f64 v[56:57], v[108:109], s[30:31], v[54:55]
	v_add_f64 v[42:43], v[52:53], v[42:43]
	;; [unrolled: 10-line block ×3, first 2 shown]
	v_mul_f64 v[52:53], v[140:141], s[24:25]
	v_add_f64 v[48:49], v[56:57], v[48:49]
	v_fma_f64 v[54:55], v[128:129], s[42:43], v[52:53]
	v_fma_f64 v[52:53], v[128:129], s[26:27], v[52:53]
	s_waitcnt vmcnt(0)
	v_add_f64 v[146:147], v[146:147], -v[8:9]
	s_clause 0x1
	buffer_load_dword v8, off, s[60:63], 0 offset:308
	buffer_load_dword v9, off, s[60:63], 0 offset:312
	v_add_f64 v[2:3], v[54:55], v[2:3]
	v_mul_f64 v[54:55], v[132:133], s[26:27]
	v_add_f64 v[0:1], v[52:53], v[0:1]
	v_add_f64 v[40:41], v[146:147], v[40:41]
	v_fma_f64 v[52:53], v[112:113], s[24:25], -v[54:55]
	v_fma_f64 v[56:57], v[112:113], s[24:25], v[54:55]
	v_add_f64 v[54:55], v[82:83], v[12:13]
	v_mul_f64 v[12:13], v[98:99], s[18:19]
	v_add_f64 v[42:43], v[52:53], v[42:43]
	v_add_f64 v[52:53], v[80:81], v[14:15]
	;; [unrolled: 1-line block ×3, first 2 shown]
	v_mul_f64 v[28:29], v[108:109], s[28:29]
	v_add_f64 v[12:13], v[12:13], -v[10:11]
	v_add_f64 v[48:49], v[56:57], v[48:49]
	v_add_f64 v[56:57], v[182:183], v[30:31]
	v_mul_f64 v[30:31], v[112:113], s[16:17]
	v_add_f64 v[12:13], v[12:13], v[14:15]
	v_add_f64 v[14:15], v[188:189], v[26:27]
	v_mul_f64 v[26:27], v[116:117], s[22:23]
	v_add_f64 v[14:15], v[192:193], v[14:15]
	s_waitcnt vmcnt(0)
	v_add_f64 v[156:157], v[8:9], v[156:157]
	s_clause 0x1
	buffer_load_dword v8, off, s[60:63], 0 offset:284
	buffer_load_dword v9, off, s[60:63], 0 offset:288
	v_add_f64 v[38:39], v[156:157], v[38:39]
	v_add_f64 v[38:39], v[194:195], v[38:39]
	;; [unrolled: 1-line block ×5, first 2 shown]
	s_waitcnt vmcnt(0)
	v_add_f64 v[158:159], v[158:159], -v[8:9]
	s_clause 0x1
	buffer_load_dword v8, off, s[60:63], 0 offset:300
	buffer_load_dword v9, off, s[60:63], 0 offset:304
	v_add_f64 v[40:41], v[158:159], v[40:41]
	s_waitcnt vmcnt(0)
	v_add_f64 v[196:197], v[196:197], -v[8:9]
	s_clause 0x1
	buffer_load_dword v8, off, s[60:63], 0 offset:316
	buffer_load_dword v9, off, s[60:63], 0 offset:320
	v_add_f64 v[40:41], v[196:197], v[40:41]
	;; [unrolled: 6-line block ×3, first 2 shown]
	v_add_f64 v[40:41], v[204:205], v[40:41]
	v_add_f64 v[40:41], v[208:209], v[40:41]
	s_waitcnt vmcnt(0)
	v_add_f64 v[210:211], v[221:222], -v[8:9]
	s_clause 0x1
	buffer_load_dword v8, off, s[60:63], 0 offset:132
	buffer_load_dword v9, off, s[60:63], 0 offset:136
	v_mul_f64 v[221:222], v[142:143], s[10:11]
	v_add_f64 v[36:37], v[210:211], v[36:37]
	v_add_f64 v[172:173], v[172:173], v[221:222]
	v_mul_f64 v[221:222], v[124:125], s[24:25]
	v_add_f64 v[36:37], v[223:224], v[36:37]
	v_add_f64 v[221:222], v[251:252], v[221:222]
	;; [unrolled: 1-line block ×11, first 2 shown]
	s_waitcnt vmcnt(0)
	v_add_f64 v[28:29], v[28:29], -v[8:9]
	s_clause 0x1
	buffer_load_dword v8, off, s[60:63], 0 offset:140
	buffer_load_dword v9, off, s[60:63], 0 offset:144
	v_add_f64 v[12:13], v[28:29], v[12:13]
	v_mul_f64 v[28:29], v[140:141], s[16:17]
	s_waitcnt vmcnt(0)
	v_add_f64 v[26:27], v[26:27], -v[8:9]
	s_clause 0x1
	buffer_load_dword v8, off, s[60:63], 0 offset:172
	buffer_load_dword v9, off, s[60:63], 0 offset:176
	v_add_f64 v[12:13], v[26:27], v[12:13]
	v_mul_f64 v[26:27], v[138:139], s[30:31]
	v_add_f64 v[68:69], v[249:250], v[26:27]
	s_waitcnt vmcnt(0)
	v_add_f64 v[28:29], v[8:9], v[28:29]
	s_clause 0x1
	buffer_load_dword v8, off, s[60:63], 0 offset:148
	buffer_load_dword v9, off, s[60:63], 0 offset:152
	v_add_f64 v[70:71], v[28:29], v[14:15]
	v_mul_f64 v[14:15], v[114:115], s[30:31]
	s_waitcnt vmcnt(0)
	v_add_f64 v[30:31], v[30:31], -v[8:9]
	s_clause 0x1
	buffer_load_dword v8, off, s[60:63], 0 offset:156
	buffer_load_dword v9, off, s[60:63], 0 offset:160
	v_add_f64 v[74:75], v[30:31], v[12:13]
	v_mul_f64 v[12:13], v[102:103], s[24:25]
	s_waitcnt vmcnt(0)
	v_add_f64 v[72:73], v[14:15], -v[8:9]
	v_fma_f64 v[14:15], v[90:91], s[42:43], v[12:13]
	v_fma_f64 v[12:13], v[90:91], s[26:27], v[12:13]
	v_add_f64 v[14:15], v[14:15], v[24:25]
	v_mul_f64 v[24:25], v[110:111], s[16:17]
	v_add_f64 v[12:13], v[12:13], v[20:21]
	v_fma_f64 v[26:27], v[94:95], s[4:5], v[24:25]
	v_fma_f64 v[24:25], v[94:95], s[50:51], v[24:25]
	v_add_f64 v[14:15], v[26:27], v[14:15]
	v_mul_f64 v[26:27], v[124:125], s[38:39]
	v_add_f64 v[12:13], v[24:25], v[12:13]
	;; [unrolled: 5-line block ×3, first 2 shown]
	v_fma_f64 v[30:31], v[118:119], s[54:55], v[28:29]
	v_add_f64 v[14:15], v[30:31], v[14:15]
	v_mul_f64 v[30:31], v[136:137], s[10:11]
	v_fma_f64 v[32:33], v[130:131], s[8:9], v[30:31]
	v_fma_f64 v[30:31], v[130:131], s[48:49], v[30:31]
	v_add_f64 v[14:15], v[32:33], v[14:15]
	v_mul_f64 v[32:33], v[96:97], s[42:43]
	v_mul_f64 v[96:97], v[96:97], s[44:45]
	v_fma_f64 v[76:77], v[88:89], s[24:25], -v[32:33]
	v_fma_f64 v[32:33], v[88:89], s[24:25], v[32:33]
	v_add_f64 v[46:47], v[76:77], v[46:47]
	v_mul_f64 v[76:77], v[100:101], s[4:5]
	v_mul_f64 v[100:101], v[100:101], s[20:21]
	v_add_f64 v[20:21], v[32:33], v[22:23]
	v_fma_f64 v[78:79], v[92:93], s[16:17], -v[76:77]
	v_fma_f64 v[22:23], v[92:93], s[16:17], v[76:77]
	v_mul_f64 v[76:77], v[120:121], s[36:37]
	v_add_f64 v[46:47], v[78:79], v[46:47]
	v_mul_f64 v[78:79], v[106:107], s[52:53]
	v_mul_f64 v[106:107], v[106:107], s[56:57]
	v_add_f64 v[20:21], v[22:23], v[20:21]
	v_fma_f64 v[80:81], v[98:99], s[38:39], -v[78:79]
	v_fma_f64 v[32:33], v[98:99], s[30:31], v[106:107]
	v_fma_f64 v[22:23], v[98:99], s[38:39], v[78:79]
	v_mul_f64 v[78:79], v[140:141], s[28:29]
	v_add_f64 v[46:47], v[80:81], v[46:47]
	v_mul_f64 v[80:81], v[126:127], s[54:55]
	v_mul_f64 v[126:127], v[126:127], s[4:5]
	v_add_f64 v[20:21], v[22:23], v[20:21]
	v_fma_f64 v[82:83], v[108:109], s[22:23], -v[80:81]
	v_fma_f64 v[22:23], v[108:109], s[16:17], v[126:127]
	v_fma_f64 v[26:27], v[108:109], s[22:23], v[80:81]
	v_mul_f64 v[80:81], v[132:133], s[36:37]
	v_add_f64 v[46:47], v[82:83], v[46:47]
	v_mul_f64 v[82:83], v[102:103], s[18:19]
	v_add_f64 v[20:21], v[26:27], v[20:21]
	v_fma_f64 v[26:27], v[116:117], s[28:29], -v[76:77]
	v_fma_f64 v[76:77], v[116:117], s[28:29], v[76:77]
	v_fma_f64 v[102:103], v[90:91], s[44:45], v[82:83]
	;; [unrolled: 1-line block ×3, first 2 shown]
	v_mul_f64 v[90:91], v[134:135], s[44:45]
	v_add_f64 v[4:5], v[102:103], v[4:5]
	v_fma_f64 v[102:103], v[88:89], s[18:19], -v[96:97]
	v_add_f64 v[6:7], v[82:83], v[6:7]
	v_fma_f64 v[82:83], v[88:89], s[18:19], v[96:97]
	v_mul_f64 v[88:89], v[132:133], s[48:49]
	v_add_f64 v[44:45], v[102:103], v[44:45]
	v_mul_f64 v[102:103], v[110:111], s[22:23]
	v_add_f64 v[50:51], v[82:83], v[50:51]
	v_fma_f64 v[110:111], v[94:95], s[20:21], v[102:103]
	v_fma_f64 v[82:83], v[94:95], s[54:55], v[102:103]
	v_mul_f64 v[94:95], v[134:135], s[26:27]
	v_fma_f64 v[102:103], v[114:115], s[18:19], -v[90:91]
	v_fma_f64 v[90:91], v[114:115], s[18:19], v[90:91]
	v_add_f64 v[4:5], v[110:111], v[4:5]
	v_fma_f64 v[110:111], v[92:93], s[22:23], -v[100:101]
	v_add_f64 v[6:7], v[82:83], v[6:7]
	v_fma_f64 v[82:83], v[92:93], s[22:23], v[100:101]
	v_mul_f64 v[92:93], v[138:139], s[24:25]
	v_add_f64 v[44:45], v[110:111], v[44:45]
	v_mul_f64 v[110:111], v[124:125], s[30:31]
	v_add_f64 v[50:51], v[82:83], v[50:51]
	v_fma_f64 v[124:125], v[104:105], s[56:57], v[110:111]
	v_fma_f64 v[82:83], v[104:105], s[34:35], v[110:111]
	v_add_f64 v[32:33], v[32:33], v[50:51]
	v_mul_f64 v[50:51], v[136:137], s[28:29]
	v_add_f64 v[4:5], v[124:125], v[4:5]
	v_fma_f64 v[124:125], v[98:99], s[30:31], -v[106:107]
	v_add_f64 v[6:7], v[82:83], v[6:7]
	v_add_f64 v[22:23], v[22:23], v[32:33]
	v_mul_f64 v[82:83], v[140:141], s[10:11]
	v_fma_f64 v[106:107], v[122:123], s[26:27], v[92:93]
	v_fma_f64 v[92:93], v[122:123], s[42:43], v[92:93]
	v_add_f64 v[44:45], v[124:125], v[44:45]
	v_mul_f64 v[124:125], v[142:143], s[16:17]
	v_add_f64 v[22:23], v[76:77], v[22:23]
	v_mul_f64 v[76:77], v[138:139], s[18:19]
	v_fma_f64 v[24:25], v[118:119], s[50:51], v[124:125]
	v_fma_f64 v[142:143], v[118:119], s[4:5], v[124:125]
	v_fma_f64 v[100:101], v[122:123], s[44:45], v[76:77]
	v_fma_f64 v[76:77], v[122:123], s[6:7], v[76:77]
	v_add_f64 v[6:7], v[24:25], v[6:7]
	v_fma_f64 v[24:25], v[118:119], s[20:21], v[28:29]
	v_mul_f64 v[28:29], v[120:121], s[8:9]
	v_add_f64 v[4:5], v[142:143], v[4:5]
	v_fma_f64 v[142:143], v[108:109], s[16:17], -v[126:127]
	v_add_f64 v[12:13], v[24:25], v[12:13]
	v_fma_f64 v[32:33], v[116:117], s[10:11], -v[28:29]
	v_fma_f64 v[28:29], v[116:117], s[10:11], v[28:29]
	v_fma_f64 v[24:25], v[130:131], s[36:37], v[50:51]
	v_add_f64 v[44:45], v[142:143], v[44:45]
	v_fma_f64 v[50:51], v[130:131], s[46:47], v[50:51]
	v_add_f64 v[12:13], v[30:31], v[12:13]
	v_add_f64 v[32:33], v[32:33], v[46:47]
	v_mul_f64 v[46:47], v[138:139], s[22:23]
	v_add_f64 v[20:21], v[28:29], v[20:21]
	v_fma_f64 v[28:29], v[112:113], s[10:11], -v[88:89]
	v_fma_f64 v[88:89], v[112:113], s[10:11], v[88:89]
	v_add_f64 v[4:5], v[24:25], v[4:5]
	v_mul_f64 v[24:25], v[134:135], s[54:55]
	v_add_f64 v[26:27], v[26:27], v[44:45]
	v_fma_f64 v[44:45], v[128:129], s[36:37], v[78:79]
	v_add_f64 v[6:7], v[50:51], v[6:7]
	v_fma_f64 v[50:51], v[112:113], s[28:29], -v[80:81]
	v_fma_f64 v[30:31], v[128:129], s[48:49], v[82:83]
	v_fma_f64 v[82:83], v[128:129], s[8:9], v[82:83]
	v_fma_f64 v[78:79], v[128:129], s[46:47], v[78:79]
	v_fma_f64 v[80:81], v[112:113], s[28:29], v[80:81]
	v_fma_f64 v[96:97], v[122:123], s[20:21], v[46:47]
	v_fma_f64 v[46:47], v[122:123], s[54:55], v[46:47]
	v_add_f64 v[88:89], v[88:89], v[22:23]
	v_fma_f64 v[98:99], v[114:115], s[22:23], v[24:25]
	v_fma_f64 v[24:25], v[114:115], s[22:23], -v[24:25]
	v_add_f64 v[44:45], v[44:45], v[14:15]
	v_add_f64 v[104:105], v[28:29], v[26:27]
	;; [unrolled: 1-line block ×5, first 2 shown]
	v_fma_f64 v[82:83], v[114:115], s[24:25], -v[94:95]
	v_fma_f64 v[94:95], v[114:115], s[24:25], v[94:95]
	v_add_f64 v[78:79], v[78:79], v[12:13]
	v_add_f64 v[80:81], v[80:81], v[20:21]
	;; [unrolled: 1-line block ×10, first 2 shown]
	buffer_load_dword v0, off, s[60:63], 0  ; 4-byte Folded Reload
	v_add_f64 v[14:15], v[96:97], v[2:3]
	v_mov_b32_e32 v1, 4
	v_add_f64 v[12:13], v[98:99], v[48:49]
	v_add_f64 v[20:21], v[24:25], v[42:43]
	v_add_f64 v[24:25], v[86:87], v[54:55]
	v_add_f64 v[42:43], v[68:69], v[70:71]
	v_add_f64 v[46:47], v[100:101], v[44:45]
	v_add_f64 v[44:45], v[102:103], v[50:51]
	v_add_f64 v[50:51], v[106:107], v[4:5]
	v_add_f64 v[48:49], v[82:83], v[104:105]
	v_add_f64 v[54:55], v[92:93], v[6:7]
	v_add_f64 v[52:53], v[94:95], v[88:89]
	v_add_f64 v[58:59], v[76:77], v[78:79]
	v_add_f64 v[56:57], v[90:91], v[80:81]
	s_waitcnt vmcnt(0)
	v_mul_lo_u16 v0, v0, 17
	v_lshlrev_b32_sdwa v0, v1, v0 dst_sel:DWORD dst_unused:UNUSED_PAD src0_sel:DWORD src1_sel:WORD_0
	ds_write_b128 v0, v[16:19]
	ds_write_b128 v0, v[24:27] offset:16
	ds_write_b128 v0, v[28:31] offset:32
	;; [unrolled: 1-line block ×13, first 2 shown]
	s_clause 0x3
	buffer_load_dword v1, off, s[60:63], 0 offset:44
	buffer_load_dword v2, off, s[60:63], 0 offset:48
	buffer_load_dword v3, off, s[60:63], 0 offset:52
	buffer_load_dword v4, off, s[60:63], 0 offset:56
	s_waitcnt vmcnt(0)
	ds_write_b128 v0, v[1:4] offset:224
	s_clause 0x3
	buffer_load_dword v1, off, s[60:63], 0 offset:28
	buffer_load_dword v2, off, s[60:63], 0 offset:32
	buffer_load_dword v3, off, s[60:63], 0 offset:36
	buffer_load_dword v4, off, s[60:63], 0 offset:40
	s_waitcnt vmcnt(0)
	ds_write_b128 v0, v[1:4] offset:240
	;; [unrolled: 7-line block ×3, first 2 shown]
.LBB0_7:
	s_or_b32 exec_lo, exec_lo, s33
	buffer_load_dword v103, off, s[60:63], 0 ; 4-byte Folded Reload
	v_mov_b32_e32 v3, 0xf0f1
	v_mov_b32_e32 v8, 4
	s_load_dwordx4 s[4:7], s[0:1], 0x0
	s_waitcnt vmcnt(0) lgkmcnt(0)
	s_barrier
	buffer_gl0_inv
	v_and_b32_e32 v0, 0xff, v103
	v_add_nc_u16 v12, v103, 0x77
	v_add_co_u32 v1, null, 0xee, v103
	v_add_co_u32 v5, null, 0x1dc, v103
	v_mul_lo_u16 v0, 0xf1, v0
	v_and_b32_e32 v2, 0xff, v12
	v_add_co_u32 v6, null, 0x253, v103
	v_lshlrev_b32_sdwa v188, v8, v103 dst_sel:DWORD dst_unused:UNUSED_PAD src0_sel:DWORD src1_sel:WORD_0
	v_lshrrev_b16 v9, 12, v0
	v_mul_lo_u16 v13, 0xf1, v2
	v_add_co_u32 v0, null, 0x165, v103
	v_mul_u32_u24_sdwa v2, v1, v3 dst_sel:DWORD dst_unused:UNUSED_PAD src0_sel:WORD_0 src1_sel:DWORD
	v_mul_lo_u16 v4, v9, 17
	v_lshrrev_b16 v10, 12, v13
	v_cmp_gt_u16_e64 s0, 0x55, v103
	v_lshrrev_b32_e32 v11, 20, v2
	v_sub_nc_u16 v4, v103, v4
	v_mul_u32_u24_sdwa v2, v0, v3 dst_sel:DWORD dst_unused:UNUSED_PAD src0_sel:WORD_0 src1_sel:DWORD
	v_mul_lo_u16 v7, v10, 17
	v_mul_lo_u16 v14, v11, 17
	v_and_b32_e32 v36, 0xff, v4
	v_mul_u32_u24_sdwa v4, v5, v3 dst_sel:DWORD dst_unused:UNUSED_PAD src0_sel:WORD_0 src1_sel:DWORD
	v_mul_u32_u24_sdwa v3, v6, v3 dst_sel:DWORD dst_unused:UNUSED_PAD src0_sel:WORD_0 src1_sel:DWORD
	v_lshrrev_b32_e32 v37, 20, v2
	v_sub_nc_u16 v2, v12, v7
	v_sub_nc_u16 v39, v1, v14
	v_lshrrev_b32_e32 v38, 20, v4
	v_lshrrev_b32_e32 v40, 20, v3
	v_mul_lo_u16 v1, v37, 17
	v_and_b32_e32 v41, 0xff, v2
	v_lshlrev_b32_sdwa v3, v8, v39 dst_sel:DWORD dst_unused:UNUSED_PAD src0_sel:DWORD src1_sel:WORD_0
	v_mul_lo_u16 v2, v38, 17
	v_mul_lo_u16 v4, v40, 17
	v_sub_nc_u16 v42, v0, v1
	v_lshlrev_b32_e32 v0, 4, v41
	v_lshlrev_b32_e32 v15, 4, v36
	v_sub_nc_u16 v43, v5, v2
	v_sub_nc_u16 v102, v6, v4
	v_lshlrev_b32_sdwa v1, v8, v42 dst_sel:DWORD dst_unused:UNUSED_PAD src0_sel:DWORD src1_sel:WORD_0
	s_clause 0x1
	global_load_dwordx4 v[104:107], v3, s[2:3]
	global_load_dwordx4 v[56:59], v0, s[2:3]
	v_lshlrev_b32_sdwa v2, v8, v43 dst_sel:DWORD dst_unused:UNUSED_PAD src0_sel:DWORD src1_sel:WORD_0
	v_lshlrev_b32_sdwa v0, v8, v102 dst_sel:DWORD dst_unused:UNUSED_PAD src0_sel:DWORD src1_sel:WORD_0
	s_clause 0x3
	global_load_dwordx4 v[52:55], v15, s[2:3]
	global_load_dwordx4 v[48:51], v1, s[2:3]
	;; [unrolled: 1-line block ×4, first 2 shown]
	ds_read_b128 v[14:17], v188 offset:15232
	ds_read_b128 v[18:21], v188 offset:11424
	;; [unrolled: 1-line block ×6, first 2 shown]
	ds_read_b128 v[72:75], v188
	ds_read_b128 v[84:87], v188 offset:1904
	ds_read_b128 v[88:91], v188 offset:3808
	;; [unrolled: 1-line block ×3, first 2 shown]
	s_waitcnt vmcnt(5) lgkmcnt(9)
	v_mul_f64 v[0:1], v[16:17], v[106:107]
	s_waitcnt vmcnt(4) lgkmcnt(7)
	v_mul_f64 v[76:77], v[22:23], v[58:59]
	v_mul_f64 v[2:3], v[14:15], v[106:107]
	;; [unrolled: 1-line block ×3, first 2 shown]
	s_waitcnt vmcnt(2) lgkmcnt(6)
	v_mul_f64 v[78:79], v[28:29], v[50:51]
	v_mul_f64 v[80:81], v[26:27], v[50:51]
	s_waitcnt vmcnt(1) lgkmcnt(5)
	v_mul_f64 v[82:83], v[32:33], v[46:47]
	v_mul_f64 v[96:97], v[30:31], v[46:47]
	;; [unrolled: 3-line block ×3, first 2 shown]
	v_mul_f64 v[4:5], v[20:21], v[54:55]
	v_mul_f64 v[6:7], v[18:19], v[54:55]
	v_fma_f64 v[0:1], v[14:15], v[104:105], -v[0:1]
	buffer_store_dword v104, off, s[60:63], 0 offset:76 ; 4-byte Folded Spill
	buffer_store_dword v105, off, s[60:63], 0 offset:80 ; 4-byte Folded Spill
	;; [unrolled: 1-line block ×4, first 2 shown]
	v_fma_f64 v[24:25], v[24:25], v[56:57], v[76:77]
	v_fma_f64 v[34:35], v[22:23], v[56:57], -v[34:35]
	v_fma_f64 v[76:77], v[26:27], v[48:49], -v[78:79]
	v_fma_f64 v[78:79], v[28:29], v[48:49], v[80:81]
	v_fma_f64 v[80:81], v[30:31], v[44:45], -v[82:83]
	buffer_store_dword v44, off, s[60:63], 0 offset:156 ; 4-byte Folded Spill
	buffer_store_dword v45, off, s[60:63], 0 offset:160 ; 4-byte Folded Spill
	buffer_store_dword v46, off, s[60:63], 0 offset:164 ; 4-byte Folded Spill
	buffer_store_dword v47, off, s[60:63], 0 offset:168 ; 4-byte Folded Spill
	v_fma_f64 v[4:5], v[18:19], v[52:53], -v[4:5]
	v_fma_f64 v[6:7], v[20:21], v[52:53], v[6:7]
	s_waitcnt lgkmcnt(1)
	v_add_f64 v[22:23], v[88:89], -v[0:1]
	v_mul_lo_u16 v0, v9, 34
	v_mov_b32_e32 v1, 34
	v_add_f64 v[30:31], v[84:85], -v[34:35]
	v_and_b32_e32 v0, 0xfe, v0
	v_mul_u32_u24_sdwa v1, v10, v1 dst_sel:DWORD dst_unused:UNUSED_PAD src0_sel:WORD_0 src1_sel:DWORD
	v_add_f64 v[26:27], v[72:73], -v[4:5]
	v_add_f64 v[28:29], v[74:75], -v[6:7]
	v_mad_u16 v4, v38, 34, v43
	v_mad_u16 v5, v40, 34, v102
	v_add_lshl_u32 v7, v0, v36, 4
	v_add_lshl_u32 v1, v1, v41, 4
	v_lshlrev_b32_sdwa v0, v8, v5 dst_sel:DWORD dst_unused:UNUSED_PAD src0_sel:DWORD src1_sel:WORD_0
	v_fma_f64 v[88:89], v[88:89], 2.0, -v[22:23]
	v_fma_f64 v[72:73], v[72:73], 2.0, -v[26:27]
	;; [unrolled: 1-line block ×3, first 2 shown]
	v_fma_f64 v[2:3], v[16:17], v[104:105], v[2:3]
	ds_read_b128 v[14:17], v188 offset:7616
	v_fma_f64 v[82:83], v[32:33], v[44:45], v[96:97]
	v_fma_f64 v[96:97], v[68:69], v[108:109], -v[98:99]
	buffer_store_dword v108, off, s[60:63], 0 offset:92 ; 4-byte Folded Spill
	buffer_store_dword v109, off, s[60:63], 0 offset:96 ; 4-byte Folded Spill
	;; [unrolled: 1-line block ×4, first 2 shown]
	ds_read_b128 v[18:21], v188 offset:9520
	v_add_f64 v[32:33], v[86:87], -v[24:25]
	s_waitcnt lgkmcnt(2)
	v_add_f64 v[68:69], v[92:93], -v[76:77]
	s_waitcnt lgkmcnt(0)
	s_waitcnt_vscnt null, 0x0
	s_barrier
	buffer_gl0_inv
	ds_write_b128 v7, v[26:29] offset:272
	buffer_store_dword v7, off, s[60:63], 0 offset:148 ; 4-byte Folded Spill
	ds_write_b128 v7, v[72:75]
	ds_write_b128 v1, v[30:33] offset:272
	v_add_f64 v[24:25], v[90:91], -v[2:3]
	v_add_f64 v[76:77], v[14:15], -v[80:81]
	;; [unrolled: 1-line block ×3, first 2 shown]
	v_fma_f64 v[96:97], v[84:85], 2.0, -v[30:31]
	v_fma_f64 v[92:93], v[92:93], 2.0, -v[68:69]
	v_mad_u16 v2, v11, 34, v39
	v_mad_u16 v3, v37, 34, v42
	buffer_store_dword v1, off, s[60:63], 0 offset:140 ; 4-byte Folded Spill
	v_lshlrev_b32_sdwa v6, v8, v2 dst_sel:DWORD dst_unused:UNUSED_PAD src0_sel:DWORD src1_sel:WORD_0
	v_lshlrev_b32_sdwa v3, v8, v3 dst_sel:DWORD dst_unused:UNUSED_PAD src0_sel:DWORD src1_sel:WORD_0
	v_lshlrev_b32_sdwa v2, v8, v4 dst_sel:DWORD dst_unused:UNUSED_PAD src0_sel:DWORD src1_sel:WORD_0
	v_fma_f64 v[90:91], v[90:91], 2.0, -v[24:25]
	v_fma_f64 v[84:85], v[14:15], 2.0, -v[76:77]
	;; [unrolled: 1-line block ×3, first 2 shown]
	v_fma_f64 v[98:99], v[70:71], v[108:109], v[100:101]
	v_add_f64 v[70:71], v[94:95], -v[78:79]
	v_add_f64 v[78:79], v[16:17], -v[82:83]
	;; [unrolled: 1-line block ×3, first 2 shown]
	v_fma_f64 v[98:99], v[86:87], 2.0, -v[32:33]
	v_fma_f64 v[94:95], v[94:95], 2.0, -v[70:71]
	;; [unrolled: 1-line block ×3, first 2 shown]
	ds_write_b128 v1, v[96:99]
	ds_write_b128 v6, v[88:91]
	v_fma_f64 v[114:115], v[20:21], 2.0, -v[82:83]
	buffer_store_dword v6, off, s[60:63], 0 offset:132 ; 4-byte Folded Spill
	ds_write_b128 v6, v[22:25] offset:272
	ds_write_b128 v3, v[92:95]
	buffer_store_dword v3, off, s[60:63], 0 offset:124 ; 4-byte Folded Spill
	ds_write_b128 v3, v[68:71] offset:272
	ds_write_b128 v2, v[84:87]
	;; [unrolled: 3-line block ×3, first 2 shown]
	buffer_store_dword v0, off, s[60:63], 0 offset:108 ; 4-byte Folded Spill
	ds_write_b128 v0, v[80:83] offset:272
	s_waitcnt lgkmcnt(0)
	s_waitcnt_vscnt null, 0x0
	s_barrier
	buffer_gl0_inv
	ds_read_b128 v[72:75], v188
	ds_read_b128 v[132:135], v188 offset:3264
	ds_read_b128 v[128:131], v188 offset:6528
	;; [unrolled: 1-line block ×6, first 2 shown]
	s_and_saveexec_b32 s1, s0
	s_cbranch_execz .LBB0_9
; %bb.8:
	ds_read_b128 v[68:71], v188 offset:1904
	ds_read_b128 v[84:87], v188 offset:5168
	;; [unrolled: 1-line block ×7, first 2 shown]
.LBB0_9:
	s_or_b32 exec_lo, exec_lo, s1
	buffer_load_dword v3, off, s[60:63], 0  ; 4-byte Folded Reload
	v_lshrrev_b16 v1, 13, v13
	s_mov_b32 s16, 0x37e14327
	s_mov_b32 s24, 0xe976ee23
	;; [unrolled: 1-line block ×4, first 2 shown]
	buffer_store_dword v1, off, s[60:63], 0 offset:60 ; 4-byte Folded Spill
	v_mul_lo_u16 v1, v1, 34
	s_mov_b32 s25, 0xbfe11646
	s_mov_b32 s21, 0x3febfeb5
	;; [unrolled: 1-line block ×4, first 2 shown]
	v_sub_nc_u16 v1, v12, v1
	s_mov_b32 s18, 0xaaaaaaaa
	s_mov_b32 s10, 0x5476071b
	;; [unrolled: 1-line block ×10, first 2 shown]
	s_waitcnt vmcnt(0)
	v_and_b32_e32 v0, 0xff, v3
	v_mul_lo_u16 v0, 0xf1, v0
	v_lshrrev_b16 v8, 13, v0
	v_and_b32_e32 v0, 0xff, v1
	v_mul_lo_u16 v2, v8, 34
	buffer_store_dword v0, off, s[60:63], 0 offset:68 ; 4-byte Folded Spill
	v_mad_u64_u32 v[0:1], null, 0x60, v0, s[2:3]
	s_clause 0x2
	global_load_dwordx4 v[160:163], v[0:1], off offset:272
	global_load_dwordx4 v[156:159], v[0:1], off offset:288
	;; [unrolled: 1-line block ×3, first 2 shown]
	v_sub_nc_u16 v2, v3, v2
	v_and_b32_e32 v9, 0xff, v2
	v_mad_u64_u32 v[2:3], null, 0x60, v9, s[2:3]
	s_clause 0x8
	global_load_dwordx4 v[40:43], v[0:1], off offset:320
	global_load_dwordx4 v[164:167], v[0:1], off offset:352
	;; [unrolled: 1-line block ×9, first 2 shown]
	s_waitcnt vmcnt(11) lgkmcnt(5)
	v_mul_f64 v[0:1], v[86:87], v[162:163]
	s_waitcnt vmcnt(10) lgkmcnt(4)
	v_mul_f64 v[4:5], v[78:79], v[158:159]
	;; [unrolled: 2-line block ×3, first 2 shown]
	v_mul_f64 v[2:3], v[84:85], v[162:163]
	v_mul_f64 v[6:7], v[76:77], v[158:159]
	;; [unrolled: 1-line block ×3, first 2 shown]
	s_waitcnt vmcnt(8) lgkmcnt(2)
	v_mul_f64 v[16:17], v[82:83], v[42:43]
	s_waitcnt vmcnt(7) lgkmcnt(0)
	v_mul_f64 v[18:19], v[62:63], v[166:167]
	s_waitcnt vmcnt(6)
	v_mul_f64 v[22:23], v[66:67], v[170:171]
	v_mul_f64 v[20:21], v[60:61], v[166:167]
	;; [unrolled: 1-line block ×4, first 2 shown]
	s_waitcnt vmcnt(5)
	v_mul_f64 v[28:29], v[134:135], v[110:111]
	v_mul_f64 v[30:31], v[132:133], v[110:111]
	s_waitcnt vmcnt(4)
	v_mul_f64 v[32:33], v[130:131], v[102:103]
	v_mul_f64 v[34:35], v[128:129], v[102:103]
	;; [unrolled: 3-line block ×3, first 2 shown]
	v_fma_f64 v[0:1], v[84:85], v[160:161], -v[0:1]
	buffer_store_dword v160, off, s[60:63], 0 offset:220 ; 4-byte Folded Spill
	buffer_store_dword v161, off, s[60:63], 0 offset:224 ; 4-byte Folded Spill
	;; [unrolled: 1-line block ×4, first 2 shown]
	v_fma_f64 v[4:5], v[76:77], v[156:157], -v[4:5]
	buffer_store_dword v156, off, s[60:63], 0 offset:204 ; 4-byte Folded Spill
	buffer_store_dword v157, off, s[60:63], 0 offset:208 ; 4-byte Folded Spill
	;; [unrolled: 1-line block ×4, first 2 shown]
	v_fma_f64 v[12:13], v[112:113], v[36:37], -v[12:13]
	s_waitcnt vmcnt(1)
	v_mul_f64 v[148:149], v[126:127], v[98:99]
	v_mul_f64 v[150:151], v[124:125], v[98:99]
	v_mul_f64 v[140:141], v[122:123], v[90:91]
	v_mul_f64 v[142:143], v[120:121], v[90:91]
	s_waitcnt vmcnt(0)
	v_mul_f64 v[152:153], v[118:119], v[94:95]
	v_fma_f64 v[16:17], v[80:81], v[40:41], -v[16:17]
	v_fma_f64 v[18:19], v[60:61], v[164:165], -v[18:19]
	buffer_store_dword v164, off, s[60:63], 0 offset:236 ; 4-byte Folded Spill
	buffer_store_dword v165, off, s[60:63], 0 offset:240 ; 4-byte Folded Spill
	;; [unrolled: 1-line block ×4, first 2 shown]
	v_fma_f64 v[22:23], v[64:65], v[168:169], -v[22:23]
	buffer_store_dword v168, off, s[60:63], 0 offset:252 ; 4-byte Folded Spill
	buffer_store_dword v169, off, s[60:63], 0 offset:256 ; 4-byte Folded Spill
	buffer_store_dword v170, off, s[60:63], 0 offset:260 ; 4-byte Folded Spill
	buffer_store_dword v171, off, s[60:63], 0 offset:264 ; 4-byte Folded Spill
	buffer_store_dword v36, off, s[60:63], 0 offset:172 ; 4-byte Folded Spill
	buffer_store_dword v37, off, s[60:63], 0 offset:176 ; 4-byte Folded Spill
	buffer_store_dword v38, off, s[60:63], 0 offset:180 ; 4-byte Folded Spill
	buffer_store_dword v39, off, s[60:63], 0 offset:184 ; 4-byte Folded Spill
	buffer_store_dword v40, off, s[60:63], 0 offset:188 ; 4-byte Folded Spill
	buffer_store_dword v41, off, s[60:63], 0 offset:192 ; 4-byte Folded Spill
	buffer_store_dword v42, off, s[60:63], 0 offset:196 ; 4-byte Folded Spill
	buffer_store_dword v43, off, s[60:63], 0 offset:200 ; 4-byte Folded Spill
	v_mul_f64 v[154:155], v[116:117], v[94:95]
	v_fma_f64 v[28:29], v[132:133], v[108:109], -v[28:29]
	v_fma_f64 v[30:31], v[134:135], v[108:109], v[30:31]
	v_fma_f64 v[32:33], v[128:129], v[100:101], -v[32:33]
	v_fma_f64 v[34:35], v[130:131], v[100:101], v[34:35]
	v_fma_f64 v[60:61], v[136:137], v[104:105], -v[144:145]
	s_waitcnt_vscnt null, 0x0
	s_barrier
	buffer_gl0_inv
	v_fma_f64 v[64:65], v[124:125], v[96:97], -v[148:149]
	v_fma_f64 v[76:77], v[120:121], v[88:89], -v[140:141]
	;; [unrolled: 1-line block ×3, first 2 shown]
	v_add_f64 v[84:85], v[0:1], v[18:19]
	v_add_f64 v[0:1], v[0:1], -v[18:19]
	v_add_f64 v[112:113], v[4:5], v[22:23]
	v_add_f64 v[4:5], v[4:5], -v[22:23]
	;; [unrolled: 2-line block ×4, first 2 shown]
	v_fma_f64 v[2:3], v[86:87], v[160:161], v[2:3]
	v_fma_f64 v[6:7], v[78:79], v[156:157], v[6:7]
	;; [unrolled: 1-line block ×10, first 2 shown]
	v_add_f64 v[86:87], v[2:3], v[20:21]
	v_add_f64 v[2:3], v[2:3], -v[20:21]
	v_add_f64 v[114:115], v[6:7], v[24:25]
	v_add_f64 v[6:7], v[6:7], -v[24:25]
	;; [unrolled: 2-line block ×3, first 2 shown]
	v_add_f64 v[24:25], v[30:31], v[62:63]
	v_add_f64 v[26:27], v[32:33], v[64:65]
	;; [unrolled: 1-line block ×3, first 2 shown]
	v_add_f64 v[20:21], v[28:29], -v[60:61]
	v_add_f64 v[28:29], v[30:31], -v[62:63]
	;; [unrolled: 1-line block ×4, first 2 shown]
	v_add_f64 v[34:35], v[76:77], v[80:81]
	v_add_f64 v[60:61], v[78:79], v[82:83]
	v_add_f64 v[62:63], v[80:81], -v[76:77]
	v_add_f64 v[80:81], v[82:83], -v[78:79]
	v_add_f64 v[82:83], v[112:113], v[84:85]
	v_add_f64 v[64:65], v[112:113], -v[84:85]
	v_add_f64 v[84:85], v[84:85], -v[18:19]
	;; [unrolled: 1-line block ×3, first 2 shown]
	v_add_f64 v[112:113], v[12:13], v[4:5]
	v_add_f64 v[4:5], v[4:5], -v[0:1]
	v_add_f64 v[12:13], v[0:1], -v[12:13]
	v_add_f64 v[118:119], v[114:115], v[86:87]
	v_add_f64 v[66:67], v[114:115], -v[86:87]
	v_add_f64 v[86:87], v[86:87], -v[22:23]
	;; [unrolled: 1-line block ×3, first 2 shown]
	v_add_f64 v[114:115], v[14:15], v[6:7]
	v_add_f64 v[122:123], v[26:27], v[16:17]
	;; [unrolled: 1-line block ×3, first 2 shown]
	v_add_f64 v[126:127], v[14:15], -v[6:7]
	v_add_f64 v[6:7], v[6:7], -v[2:3]
	;; [unrolled: 1-line block ×8, first 2 shown]
	v_add_f64 v[18:19], v[18:19], v[82:83]
	v_add_f64 v[134:135], v[80:81], -v[32:33]
	v_add_f64 v[136:137], v[62:63], v[30:31]
	v_add_f64 v[138:139], v[80:81], v[32:33]
	v_add_f64 v[30:31], v[30:31], -v[20:21]
	v_add_f64 v[32:33], v[32:33], -v[28:29]
	;; [unrolled: 1-line block ×3, first 2 shown]
	v_add_f64 v[22:23], v[22:23], v[118:119]
	v_add_f64 v[14:15], v[2:3], -v[14:15]
	v_add_f64 v[118:119], v[20:21], -v[62:63]
	v_mul_f64 v[141:142], v[84:85], s[16:17]
	v_mul_f64 v[143:144], v[86:87], s[16:17]
	v_add_f64 v[34:35], v[34:35], v[122:123]
	v_add_f64 v[122:123], v[60:61], v[124:125]
	v_add_f64 v[124:125], v[28:29], -v[80:81]
	v_mul_f64 v[84:85], v[120:121], s[24:25]
	v_mul_f64 v[80:81], v[126:127], s[24:25]
	;; [unrolled: 1-line block ×4, first 2 shown]
	v_add_f64 v[112:113], v[112:113], v[0:1]
	v_add_f64 v[114:115], v[114:115], v[2:3]
	v_mul_f64 v[0:1], v[16:17], s[16:17]
	v_add_f64 v[60:61], v[68:69], v[18:19]
	v_mul_f64 v[2:3], v[132:133], s[24:25]
	v_mul_f64 v[4:5], v[134:135], s[24:25]
	v_add_f64 v[6:7], v[136:137], v[20:21]
	v_add_f64 v[16:17], v[138:139], v[28:29]
	v_mul_f64 v[20:21], v[30:31], s[20:21]
	v_mul_f64 v[24:25], v[24:25], s[16:17]
	v_add_f64 v[62:63], v[70:71], v[22:23]
	v_mul_f64 v[28:29], v[32:33], s[20:21]
	v_mul_f64 v[68:69], v[26:27], s[8:9]
	;; [unrolled: 1-line block ×3, first 2 shown]
	v_fma_f64 v[120:121], v[76:77], s[8:9], v[141:142]
	v_add_f64 v[137:138], v[72:73], v[34:35]
	v_add_f64 v[139:140], v[74:75], v[122:123]
	v_fma_f64 v[126:127], v[78:79], s[8:9], v[143:144]
	v_fma_f64 v[132:133], v[64:65], s[22:23], -v[141:142]
	v_fma_f64 v[134:135], v[66:67], s[22:23], -v[143:144]
	v_fma_f64 v[141:142], v[12:13], s[26:27], v[84:85]
	v_fma_f64 v[143:144], v[14:15], s[26:27], v[80:81]
	v_fma_f64 v[12:13], v[12:13], s[28:29], -v[86:87]
	v_fma_f64 v[14:15], v[14:15], s[28:29], -v[82:83]
	v_fma_f64 v[26:27], v[26:27], s[8:9], v[0:1]
	v_fma_f64 v[72:73], v[18:19], s[18:19], v[60:61]
	;; [unrolled: 1-line block ×4, first 2 shown]
	v_fma_f64 v[2:3], v[30:31], s[20:21], -v[2:3]
	v_fma_f64 v[4:5], v[32:33], s[20:21], -v[4:5]
	;; [unrolled: 1-line block ×3, first 2 shown]
	v_fma_f64 v[18:19], v[116:117], s[8:9], v[24:25]
	v_fma_f64 v[74:75], v[22:23], s[18:19], v[62:63]
	v_fma_f64 v[28:29], v[124:125], s[28:29], -v[28:29]
	v_fma_f64 v[0:1], v[128:129], s[22:23], -v[0:1]
	;; [unrolled: 1-line block ×4, first 2 shown]
	v_fma_f64 v[30:31], v[34:35], s[18:19], v[137:138]
	v_fma_f64 v[32:33], v[122:123], s[18:19], v[139:140]
	v_fma_f64 v[34:35], v[130:131], s[10:11], -v[70:71]
	s_mov_b32 s16, 0x37c3f68c
	s_mov_b32 s17, 0x3fdc38aa
	v_mov_b32_e32 v136, 0xee
	v_fma_f64 v[70:71], v[112:113], s[16:17], v[141:142]
	v_fma_f64 v[68:69], v[114:115], s[16:17], v[143:144]
	;; [unrolled: 1-line block ×4, first 2 shown]
	v_add_f64 v[132:133], v[132:133], v[72:73]
	v_add_f64 v[120:121], v[120:121], v[72:73]
	v_fma_f64 v[12:13], v[6:7], s[16:17], v[145:146]
	v_fma_f64 v[14:15], v[16:17], s[16:17], v[147:148]
	;; [unrolled: 1-line block ×5, first 2 shown]
	v_add_f64 v[134:135], v[134:135], v[74:75]
	v_add_f64 v[122:123], v[126:127], v[74:75]
	v_fma_f64 v[16:17], v[16:17], s[16:17], v[28:29]
	v_add_f64 v[20:21], v[26:27], v[30:31]
	v_add_f64 v[18:19], v[18:19], v[32:33]
	;; [unrolled: 1-line block ×6, first 2 shown]
	v_add_f64 v[128:129], v[132:133], -v[116:117]
	v_add_f64 v[124:125], v[120:121], -v[68:69]
	v_add_f64 v[130:131], v[118:119], v[134:135]
	v_add_f64 v[126:127], v[70:71], v[122:123]
	v_add_f64 v[141:142], v[14:15], v[20:21]
	v_add_f64 v[143:144], v[18:19], -v[12:13]
	v_add_f64 v[145:146], v[16:17], v[0:1]
	v_add_f64 v[147:148], v[24:25], -v[6:7]
	v_add_f64 v[149:150], v[22:23], -v[4:5]
	v_add_f64 v[151:152], v[2:3], v[26:27]
	v_add_f64 v[153:154], v[4:5], v[22:23]
	v_add_f64 v[155:156], v[26:27], -v[2:3]
	v_add_f64 v[157:158], v[0:1], -v[16:17]
	v_add_f64 v[159:160], v[6:7], v[24:25]
	v_add_f64 v[161:162], v[20:21], -v[14:15]
	v_add_f64 v[163:164], v[12:13], v[18:19]
	v_mul_u32_u24_sdwa v0, v8, v136 dst_sel:DWORD dst_unused:UNUSED_PAD src0_sel:WORD_0 src1_sel:DWORD
	v_add_lshl_u32 v249, v0, v9, 4
	ds_write_b128 v249, v[137:140]
	ds_write_b128 v249, v[141:144] offset:544
	ds_write_b128 v249, v[145:148] offset:1088
	;; [unrolled: 1-line block ×6, first 2 shown]
	s_mov_b32 s1, exec_lo
	s_clause 0x7
	buffer_load_dword v8, off, s[60:63], 0 offset:12
	buffer_load_dword v9, off, s[60:63], 0 offset:16
	;; [unrolled: 1-line block ×8, first 2 shown]
	s_and_b32 s18, s1, s0
	s_mov_b32 exec_lo, s18
	s_cbranch_execz .LBB0_11
; %bb.10:
	v_mul_f64 v[0:1], v[78:79], s[8:9]
	v_mul_f64 v[2:3], v[66:67], s[10:11]
	;; [unrolled: 1-line block ×5, first 2 shown]
	v_add_f64 v[16:17], v[86:87], -v[84:85]
	v_mul_f64 v[14:15], v[114:115], s[16:17]
	v_add_f64 v[70:71], v[122:123], -v[70:71]
	v_add_f64 v[68:69], v[68:69], v[120:121]
	v_add_f64 v[66:67], v[134:135], -v[118:119]
	v_add_f64 v[64:65], v[116:117], v[132:133]
	v_add_f64 v[0:1], v[2:3], -v[0:1]
	v_add_f64 v[2:3], v[82:83], -v[80:81]
	;; [unrolled: 1-line block ×3, first 2 shown]
	v_add_f64 v[6:7], v[12:13], v[16:17]
	v_add_f64 v[0:1], v[0:1], v[74:75]
	;; [unrolled: 1-line block ×4, first 2 shown]
	v_add_f64 v[74:75], v[0:1], -v[6:7]
	v_add_f64 v[78:79], v[6:7], v[0:1]
	s_clause 0x1
	buffer_load_dword v0, off, s[60:63], 0 offset:60
	buffer_load_dword v1, off, s[60:63], 0 offset:68
	v_add_f64 v[76:77], v[4:5], -v[2:3]
	v_add_f64 v[72:73], v[2:3], v[4:5]
	s_waitcnt vmcnt(1)
	v_mul_u32_u24_sdwa v0, v0, v136 dst_sel:DWORD dst_unused:UNUSED_PAD src0_sel:WORD_0 src1_sel:DWORD
	s_waitcnt vmcnt(0)
	v_add_lshl_u32 v0, v0, v1, 4
	ds_write_b128 v0, v[60:63]
	ds_write_b128 v0, v[128:131] offset:2720
	ds_write_b128 v0, v[68:71] offset:544
	ds_write_b128 v0, v[64:67] offset:1088
	ds_write_b128 v0, v[76:79] offset:1632
	ds_write_b128 v0, v[72:75] offset:2176
	ds_write_b128 v0, v[124:127] offset:3264
.LBB0_11:
	s_or_b32 exec_lo, exec_lo, s1
	buffer_load_dword v0, off, s[60:63], 0  ; 4-byte Folded Reload
	s_waitcnt vmcnt(0) lgkmcnt(0)
	s_barrier
	buffer_gl0_inv
	s_mov_b32 s9, 0xbfebb67a
	v_mad_u64_u32 v[0:1], null, 0x50, v0, s[2:3]
	s_mov_b32 s2, 0xe8584caa
	s_mov_b32 s3, 0x3febb67a
	;; [unrolled: 1-line block ×3, first 2 shown]
	v_add_co_u32 v2, s1, 0xdd0, v0
	v_add_co_ci_u32_e64 v3, s1, 0, v1, s1
	v_add_co_u32 v4, s1, 0x800, v0
	v_add_co_ci_u32_e64 v5, s1, 0, v1, s1
	;; [unrolled: 2-line block ×3, first 2 shown]
	s_clause 0x1
	global_load_dwordx4 v[76:79], v[2:3], off offset:32
	global_load_dwordx4 v[116:119], v[4:5], off offset:1552
	v_add_co_u32 v0, s1, 0x3000, v0
	v_add_co_ci_u32_e64 v1, s1, 0, v1, s1
	s_clause 0x7
	global_load_dwordx4 v[112:115], v[6:7], off offset:32
	global_load_dwordx4 v[120:123], v[0:1], off offset:832
	;; [unrolled: 1-line block ×8, first 2 shown]
	ds_read_b128 v[132:135], v188 offset:11424
	ds_read_b128 v[136:139], v188 offset:19040
	ds_read_b128 v[140:143], v188 offset:13328
	ds_read_b128 v[144:147], v188 offset:20944
	ds_read_b128 v[148:151], v188 offset:3808
	ds_read_b128 v[152:155], v188 offset:5712
	ds_read_b128 v[156:159], v188 offset:15232
	ds_read_b128 v[160:163], v188 offset:7616
	s_waitcnt vmcnt(9) lgkmcnt(7)
	v_mul_f64 v[0:1], v[134:135], v[78:79]
	v_mul_f64 v[2:3], v[132:133], v[78:79]
	s_waitcnt vmcnt(8) lgkmcnt(6)
	v_mul_f64 v[4:5], v[136:137], v[118:119]
	v_mul_f64 v[6:7], v[138:139], v[118:119]
	;; [unrolled: 3-line block ×7, first 2 shown]
	s_waitcnt vmcnt(2)
	v_mul_f64 v[32:33], v[158:159], v[82:83]
	v_mul_f64 v[34:35], v[156:157], v[82:83]
	v_fma_f64 v[0:1], v[132:133], v[76:77], -v[0:1]
	v_fma_f64 v[2:3], v[134:135], v[76:77], v[2:3]
	v_fma_f64 v[4:5], v[138:139], v[116:117], v[4:5]
	v_fma_f64 v[6:7], v[136:137], v[116:117], -v[6:7]
	v_fma_f64 v[12:13], v[140:141], v[112:113], -v[12:13]
	v_fma_f64 v[14:15], v[142:143], v[112:113], v[14:15]
	v_fma_f64 v[16:17], v[146:147], v[120:121], v[16:17]
	v_fma_f64 v[18:19], v[144:145], v[120:121], -v[18:19]
	ds_read_b128 v[132:135], v188 offset:9520
	ds_read_b128 v[136:139], v188 offset:17136
	v_fma_f64 v[20:21], v[148:149], v[72:73], -v[20:21]
	v_fma_f64 v[22:23], v[150:151], v[72:73], v[22:23]
	v_fma_f64 v[24:25], v[152:153], v[60:61], -v[24:25]
	v_fma_f64 v[26:27], v[154:155], v[60:61], v[26:27]
	;; [unrolled: 2-line block ×4, first 2 shown]
	ds_read_b128 v[140:143], v188
	v_add_f64 v[144:145], v[2:3], v[4:5]
	v_add_f64 v[146:147], v[0:1], v[6:7]
	v_add_f64 v[156:157], v[2:3], -v[4:5]
	s_waitcnt vmcnt(1) lgkmcnt(2)
	v_mul_f64 v[148:149], v[134:135], v[70:71]
	v_mul_f64 v[150:151], v[132:133], v[70:71]
	s_waitcnt vmcnt(0) lgkmcnt(1)
	v_mul_f64 v[164:165], v[138:139], v[66:67]
	v_mul_f64 v[166:167], v[136:137], v[66:67]
	v_add_f64 v[152:153], v[14:15], v[16:17]
	v_add_f64 v[154:155], v[12:13], v[18:19]
	v_add_f64 v[158:159], v[0:1], -v[6:7]
	v_add_f64 v[160:161], v[14:15], -v[16:17]
	;; [unrolled: 1-line block ×3, first 2 shown]
	v_add_f64 v[0:1], v[20:21], v[0:1]
	v_add_f64 v[2:3], v[22:23], v[2:3]
	v_add_f64 v[168:169], v[30:31], v[34:35]
	v_add_f64 v[170:171], v[30:31], -v[34:35]
	v_add_f64 v[12:13], v[24:25], v[12:13]
	v_add_f64 v[14:15], v[26:27], v[14:15]
	v_fma_f64 v[144:145], v[144:145], -0.5, v[22:23]
	v_fma_f64 v[146:147], v[146:147], -0.5, v[20:21]
	v_fma_f64 v[148:149], v[132:133], v[68:69], -v[148:149]
	v_fma_f64 v[150:151], v[134:135], v[68:69], v[150:151]
	ds_read_b128 v[132:135], v188 offset:1904
	v_fma_f64 v[136:137], v[136:137], v[64:65], -v[164:165]
	v_fma_f64 v[138:139], v[138:139], v[64:65], v[166:167]
	v_fma_f64 v[152:153], v[152:153], -0.5, v[26:27]
	v_fma_f64 v[154:155], v[154:155], -0.5, v[24:25]
	v_add_f64 v[164:165], v[28:29], v[32:33]
	s_waitcnt lgkmcnt(1)
	v_add_f64 v[30:31], v[142:143], v[30:31]
	v_add_f64 v[166:167], v[140:141], v[28:29]
	v_add_f64 v[28:29], v[28:29], -v[32:33]
	v_add_f64 v[0:1], v[0:1], v[6:7]
	v_add_f64 v[2:3], v[2:3], v[4:5]
	;; [unrolled: 1-line block ×4, first 2 shown]
	v_fma_f64 v[172:173], v[158:159], s[8:9], v[144:145]
	v_fma_f64 v[174:175], v[156:157], s[8:9], v[146:147]
	;; [unrolled: 1-line block ×4, first 2 shown]
	s_waitcnt lgkmcnt(0)
	v_add_f64 v[20:21], v[132:133], v[148:149]
	v_add_f64 v[22:23], v[134:135], v[150:151]
	;; [unrolled: 1-line block ×4, first 2 shown]
	v_fma_f64 v[176:177], v[162:163], s[8:9], v[152:153]
	v_fma_f64 v[178:179], v[160:161], s[8:9], v[154:155]
	;; [unrolled: 1-line block ×4, first 2 shown]
	v_fma_f64 v[24:25], v[164:165], -0.5, v[140:141]
	v_add_f64 v[26:27], v[150:151], -v[138:139]
	v_fma_f64 v[140:141], v[168:169], -0.5, v[142:143]
	v_add_f64 v[142:143], v[148:149], -v[136:137]
	v_add_f64 v[30:31], v[30:31], v[34:35]
	v_add_f64 v[32:33], v[166:167], v[32:33]
	v_mul_f64 v[148:149], v[172:173], s[2:3]
	v_mul_f64 v[150:151], v[174:175], -0.5
	v_mul_f64 v[160:161], v[146:147], s[8:9]
	v_mul_f64 v[162:163], v[144:145], -0.5
	v_add_f64 v[4:5], v[20:21], v[136:137]
	v_add_f64 v[6:7], v[22:23], v[138:139]
	v_fma_f64 v[132:133], v[156:157], -0.5, v[132:133]
	v_fma_f64 v[134:135], v[158:159], -0.5, v[134:135]
	v_mul_f64 v[34:35], v[176:177], s[2:3]
	v_mul_f64 v[156:157], v[178:179], -0.5
	v_mul_f64 v[158:159], v[154:155], s[8:9]
	v_mul_f64 v[164:165], v[152:153], -0.5
	v_fma_f64 v[16:17], v[170:171], s[2:3], v[24:25]
	v_fma_f64 v[18:19], v[170:171], s[8:9], v[24:25]
	;; [unrolled: 1-line block ×4, first 2 shown]
	v_fma_f64 v[24:25], v[146:147], 0.5, v[148:149]
	v_fma_f64 v[28:29], v[144:145], s[2:3], v[150:151]
	v_fma_f64 v[136:137], v[172:173], 0.5, v[160:161]
	v_fma_f64 v[138:139], v[174:175], s[8:9], v[162:163]
	v_add_f64 v[172:173], v[32:33], -v[0:1]
	v_add_f64 v[174:175], v[30:31], -v[2:3]
	v_fma_f64 v[140:141], v[26:27], s[2:3], v[132:133]
	v_fma_f64 v[26:27], v[26:27], s[8:9], v[132:133]
	;; [unrolled: 1-line block ×4, first 2 shown]
	v_fma_f64 v[34:35], v[154:155], 0.5, v[34:35]
	v_fma_f64 v[148:149], v[152:153], s[2:3], v[156:157]
	v_fma_f64 v[154:155], v[176:177], 0.5, v[158:159]
	v_fma_f64 v[189:190], v[178:179], s[8:9], v[164:165]
	v_add_f64 v[132:133], v[32:33], v[0:1]
	v_add_f64 v[134:135], v[30:31], v[2:3]
	;; [unrolled: 1-line block ×4, first 2 shown]
	v_add_f64 v[144:145], v[4:5], -v[12:13]
	v_add_f64 v[146:147], v[6:7], -v[14:15]
	v_add_f64 v[184:185], v[16:17], v[24:25]
	v_add_f64 v[180:181], v[18:19], v[28:29]
	;; [unrolled: 1-line block ×4, first 2 shown]
	v_add_f64 v[176:177], v[16:17], -v[24:25]
	v_add_f64 v[168:169], v[18:19], -v[28:29]
	;; [unrolled: 1-line block ×4, first 2 shown]
	v_add_f64 v[164:165], v[140:141], v[34:35]
	v_add_f64 v[160:161], v[26:27], v[148:149]
	;; [unrolled: 1-line block ×4, first 2 shown]
	v_add_f64 v[152:153], v[140:141], -v[34:35]
	v_add_f64 v[148:149], v[26:27], -v[148:149]
	;; [unrolled: 1-line block ×4, first 2 shown]
	ds_write_b128 v188, v[132:135]
	ds_write_b128 v188, v[172:175] offset:11424
	ds_write_b128 v188, v[156:159] offset:1904
	;; [unrolled: 1-line block ×11, first 2 shown]
	s_waitcnt lgkmcnt(0)
	s_barrier
	buffer_gl0_inv
	s_and_saveexec_b32 s2, vcc_lo
	s_cbranch_execz .LBB0_13
; %bb.12:
	v_add_co_u32 v140, s1, s12, v255
	v_add_co_ci_u32_e64 v141, null, s13, 0, s1
	v_add_co_u32 v0, s1, 0x5800, v140
	v_add_co_ci_u32_e64 v1, s1, 0, v141, s1
	global_load_dwordx4 v[136:139], v[0:1], off offset:320
	v_add_co_u32 v0, s1, 0x5940, v140
	v_add_co_ci_u32_e64 v1, s1, 0, v141, s1
	global_load_dwordx4 v[189:192], v[0:1], off offset:1344
	v_add_co_u32 v0, s1, 0x6000, v140
	v_add_co_ci_u32_e64 v1, s1, 0, v141, s1
	v_add_co_u32 v2, s1, 0x6800, v140
	v_add_co_ci_u32_e64 v3, s1, 0, v141, s1
	s_clause 0x1
	global_load_dwordx4 v[193:196], v[0:1], off offset:960
	global_load_dwordx4 v[197:200], v[2:3], off offset:256
	v_add_co_u32 v0, s1, 0x7000, v140
	v_add_co_ci_u32_e64 v1, s1, 0, v141, s1
	global_load_dwordx4 v[201:204], v[2:3], off offset:1600
	v_add_co_u32 v2, s1, 0x7800, v140
	v_add_co_ci_u32_e64 v3, s1, 0, v141, s1
	s_clause 0x1
	global_load_dwordx4 v[205:208], v[0:1], off offset:896
	global_load_dwordx4 v[209:212], v[2:3], off offset:192
	v_add_co_u32 v0, s1, 0x8000, v140
	v_add_co_ci_u32_e64 v1, s1, 0, v141, s1
	s_clause 0x1
	global_load_dwordx4 v[213:216], v[2:3], off offset:1536
	global_load_dwordx4 v[217:220], v[0:1], off offset:832
	v_add_co_u32 v0, s1, 0x8800, v140
	v_add_co_ci_u32_e64 v1, s1, 0, v141, s1
	v_add_co_u32 v2, s1, 0x9000, v140
	v_add_co_ci_u32_e64 v3, s1, 0, v141, s1
	s_clause 0x2
	global_load_dwordx4 v[221:224], v[0:1], off offset:128
	global_load_dwordx4 v[225:228], v[0:1], off offset:1472
	global_load_dwordx4 v[229:232], v[2:3], off offset:768
	v_add_co_u32 v4, s1, 0x9800, v140
	v_add_co_ci_u32_e64 v5, s1, 0, v141, s1
	v_add_co_u32 v0, s1, 0xa000, v140
	v_add_co_ci_u32_e64 v1, s1, 0, v141, s1
	;; [unrolled: 2-line block ×3, first 2 shown]
	s_clause 0x4
	global_load_dwordx4 v[233:236], v[4:5], off offset:64
	global_load_dwordx4 v[237:240], v[4:5], off offset:1408
	;; [unrolled: 1-line block ×3, first 2 shown]
	global_load_dwordx4 v[241:244], v[2:3], off
	global_load_dwordx4 v[245:248], v[2:3], off offset:1344
	ds_read_b128 v[250:253], v188
	s_waitcnt vmcnt(16) lgkmcnt(0)
	v_mul_f64 v[0:1], v[252:253], v[138:139]
	v_mul_f64 v[2:3], v[250:251], v[138:139]
	v_fma_f64 v[250:251], v[250:251], v[136:137], -v[0:1]
	v_fma_f64 v[252:253], v[252:253], v[136:137], v[2:3]
	ds_write_b128 v188, v[250:253]
	ds_read_b128 v[136:139], v255 offset:1344
	ds_read_b128 v[250:253], v255 offset:2688
	;; [unrolled: 1-line block ×8, first 2 shown]
	s_waitcnt vmcnt(15) lgkmcnt(7)
	v_mul_f64 v[0:1], v[138:139], v[191:192]
	v_mul_f64 v[2:3], v[136:137], v[191:192]
	s_waitcnt vmcnt(14) lgkmcnt(6)
	v_mul_f64 v[4:5], v[252:253], v[195:196]
	v_mul_f64 v[6:7], v[250:251], v[195:196]
	;; [unrolled: 3-line block ×5, first 2 shown]
	s_waitcnt vmcnt(10) lgkmcnt(2)
	v_mul_f64 v[207:208], v[26:27], v[211:212]
	s_waitcnt vmcnt(9) lgkmcnt(1)
	v_mul_f64 v[40:41], v[30:31], v[215:216]
	v_mul_f64 v[42:43], v[28:29], v[215:216]
	;; [unrolled: 1-line block ×3, first 2 shown]
	s_waitcnt vmcnt(8) lgkmcnt(0)
	v_mul_f64 v[215:216], v[34:35], v[219:220]
	v_mul_f64 v[219:220], v[32:33], v[219:220]
	v_fma_f64 v[136:137], v[136:137], v[189:190], -v[0:1]
	v_fma_f64 v[138:139], v[138:139], v[189:190], v[2:3]
	ds_read_b128 v[189:192], v255 offset:12096
	ds_read_b128 v[0:3], v255 offset:13440
	v_fma_f64 v[250:251], v[250:251], v[193:194], -v[4:5]
	v_fma_f64 v[252:253], v[252:253], v[193:194], v[6:7]
	v_fma_f64 v[12:13], v[12:13], v[197:198], -v[195:196]
	v_fma_f64 v[14:15], v[14:15], v[197:198], v[199:200]
	ds_read_b128 v[193:196], v255 offset:14784
	ds_read_b128 v[197:200], v255 offset:16128
	v_fma_f64 v[16:17], v[16:17], v[201:202], -v[8:9]
	v_fma_f64 v[18:19], v[18:19], v[201:202], v[10:11]
	ds_read_b128 v[201:204], v255 offset:17472
	ds_read_b128 v[4:7], v255 offset:18816
	v_fma_f64 v[20:21], v[20:21], v[205:206], -v[36:37]
	v_fma_f64 v[22:23], v[22:23], v[205:206], v[38:39]
	v_fma_f64 v[24:25], v[24:25], v[209:210], -v[207:208]
	ds_read_b128 v[205:208], v255 offset:20160
	v_fma_f64 v[28:29], v[28:29], v[213:214], -v[40:41]
	v_fma_f64 v[30:31], v[30:31], v[213:214], v[42:43]
	v_fma_f64 v[26:27], v[26:27], v[209:210], v[211:212]
	ds_read_b128 v[209:212], v255 offset:21504
	v_fma_f64 v[34:35], v[34:35], v[217:218], v[219:220]
	v_fma_f64 v[32:33], v[32:33], v[217:218], -v[215:216]
	s_waitcnt vmcnt(7) lgkmcnt(7)
	v_mul_f64 v[8:9], v[191:192], v[223:224]
	v_mul_f64 v[10:11], v[189:190], v[223:224]
	s_waitcnt vmcnt(6) lgkmcnt(6)
	v_mul_f64 v[36:37], v[2:3], v[227:228]
	v_mul_f64 v[38:39], v[0:1], v[227:228]
	;; [unrolled: 3-line block ×5, first 2 shown]
	v_mul_f64 v[215:216], v[203:204], v[239:240]
	v_mul_f64 v[217:218], v[201:202], v[239:240]
	s_waitcnt vmcnt(0) lgkmcnt(0)
	v_mul_f64 v[227:228], v[209:210], v[247:248]
	v_fma_f64 v[189:190], v[189:190], v[221:222], -v[8:9]
	v_fma_f64 v[191:192], v[191:192], v[221:222], v[10:11]
	v_mul_f64 v[8:9], v[207:208], v[243:244]
	v_mul_f64 v[10:11], v[205:206], v[243:244]
	v_fma_f64 v[0:1], v[0:1], v[225:226], -v[36:37]
	v_fma_f64 v[2:3], v[2:3], v[225:226], v[38:39]
	v_fma_f64 v[193:194], v[193:194], v[229:230], -v[40:41]
	v_fma_f64 v[195:196], v[195:196], v[229:230], v[42:43]
	v_mul_f64 v[221:222], v[211:212], v[247:248]
	v_fma_f64 v[4:5], v[4:5], v[140:141], -v[219:220]
	v_fma_f64 v[6:7], v[6:7], v[140:141], v[142:143]
	ds_write_b128 v255, v[136:139] offset:1344
	ds_write_b128 v255, v[250:253] offset:2688
	;; [unrolled: 1-line block ×11, first 2 shown]
	v_fma_f64 v[197:198], v[197:198], v[233:234], -v[213:214]
	v_fma_f64 v[199:200], v[199:200], v[233:234], v[223:224]
	v_fma_f64 v[201:202], v[201:202], v[237:238], -v[215:216]
	v_fma_f64 v[203:204], v[203:204], v[237:238], v[217:218]
	v_fma_f64 v[140:141], v[205:206], v[241:242], -v[8:9]
	v_fma_f64 v[142:143], v[207:208], v[241:242], v[10:11]
	s_clause 0x7
	buffer_load_dword v36, off, s[60:63], 0 offset:28
	buffer_load_dword v37, off, s[60:63], 0 offset:32
	;; [unrolled: 1-line block ×8, first 2 shown]
	v_fma_f64 v[207:208], v[211:212], v[245:246], v[227:228]
	v_fma_f64 v[205:206], v[209:210], v[245:246], -v[221:222]
	ds_write_b128 v255, v[197:200] offset:16128
	ds_write_b128 v255, v[201:204] offset:17472
	;; [unrolled: 1-line block ×5, first 2 shown]
.LBB0_13:
	s_or_b32 exec_lo, exec_lo, s2
	s_waitcnt vmcnt(0) lgkmcnt(0)
	s_barrier
	buffer_gl0_inv
	s_and_saveexec_b32 s1, vcc_lo
	s_cbranch_execz .LBB0_15
; %bb.14:
	ds_read_b128 v[132:135], v188
	ds_read_b128 v[184:187], v188 offset:1344
	ds_read_b128 v[180:183], v188 offset:2688
	;; [unrolled: 1-line block ×14, first 2 shown]
	s_waitcnt lgkmcnt(0)
	buffer_store_dword v0, off, s[60:63], 0 offset:44 ; 4-byte Folded Spill
	buffer_store_dword v1, off, s[60:63], 0 offset:48 ; 4-byte Folded Spill
	;; [unrolled: 1-line block ×4, first 2 shown]
	ds_read_b128 v[36:39], v188 offset:20160
	ds_read_b128 v[8:11], v188 offset:21504
.LBB0_15:
	s_or_b32 exec_lo, exec_lo, s1
	s_waitcnt lgkmcnt(0)
	v_add_f64 v[247:248], v[186:187], -v[10:11]
	s_mov_b32 s24, 0xeb564b22
	s_mov_b32 s25, 0xbfefdd0d
	v_add_f64 v[253:254], v[186:187], v[10:11]
	s_mov_b32 s8, 0x3259b75e
	s_mov_b32 s9, 0x3fb79ee6
	s_clause 0x3
	buffer_load_dword v18, off, s[60:63], 0 offset:44
	buffer_load_dword v19, off, s[60:63], 0 offset:48
	;; [unrolled: 1-line block ×4, first 2 shown]
	v_add_f64 v[251:252], v[184:185], v[8:9]
	v_add_f64 v[217:218], v[182:183], -v[38:39]
	s_mov_b32 s10, 0xacd6c6b4
	s_mov_b32 s11, 0xbfc7851a
	v_add_f64 v[189:190], v[180:181], v[36:37]
	v_add_f64 v[241:242], v[184:185], -v[8:9]
	v_add_f64 v[191:192], v[182:183], v[38:39]
	s_mov_b32 s2, 0x7faef3
	s_mov_b32 s40, 0x923c349f
	;; [unrolled: 1-line block ×6, first 2 shown]
	v_add_f64 v[207:208], v[180:181], -v[36:37]
	v_add_f64 v[201:202], v[178:179], -v[126:127]
	v_mul_f64 v[0:1], v[247:248], s[24:25]
	s_mov_b32 s18, 0xc61f0d01
	s_mov_b32 s16, 0x5d8e7cdc
	v_mul_f64 v[2:3], v[253:254], s[8:9]
	s_mov_b32 s19, 0xbfd183b1
	s_mov_b32 s17, 0x3fd71e95
	v_mov_b32_e32 v13, v11
	v_mov_b32_e32 v12, v10
	v_mul_f64 v[26:27], v[217:218], s[10:11]
	v_mov_b32_e32 v11, v9
	v_mov_b32_e32 v10, v8
	v_add_f64 v[197:198], v[176:177], v[124:125]
	v_add_f64 v[199:200], v[178:179], v[126:127]
	v_mul_f64 v[22:23], v[191:192], s[2:3]
	s_mov_b32 s20, 0x370991
	s_mov_b32 s21, 0x3fedd6d0
	v_add_f64 v[237:238], v[176:177], -v[124:125]
	v_add_f64 v[235:236], v[170:171], -v[130:131]
	s_mov_b32 s38, 0x7c9e640b
	s_mov_b32 s39, 0xbfeca52d
	v_add_f64 v[203:204], v[168:169], v[128:129]
	v_mul_f64 v[24:25], v[201:202], s[16:17]
	buffer_store_dword v0, off, s[60:63], 0 offset:348 ; 4-byte Folded Spill
	buffer_store_dword v1, off, s[60:63], 0 offset:352 ; 4-byte Folded Spill
	;; [unrolled: 1-line block ×4, first 2 shown]
	v_add_f64 v[211:212], v[170:171], v[130:131]
	s_mov_b32 s22, 0x2b2883cd
	s_mov_b32 s23, 0x3fdc86fa
	v_add_f64 v[245:246], v[168:169], -v[128:129]
	v_fma_f64 v[4:5], v[189:190], s[2:3], -v[26:27]
	v_add_f64 v[243:244], v[158:159], -v[150:151]
	s_mov_b32 s42, 0x4363dd80
	s_mov_b32 s43, 0x3fe0d888
	v_mul_f64 v[32:33], v[199:200], s[20:21]
	v_fma_f64 v[6:7], v[207:208], s[10:11], v[22:23]
	s_mov_b32 s31, 0xbfe0d888
	s_mov_b32 s30, s42
	v_add_f64 v[209:210], v[156:157], v[148:149]
	v_add_f64 v[223:224], v[158:159], v[150:151]
	s_mov_b32 s26, 0x910ea3b9
	s_mov_b32 s27, 0xbfeb34fa
	v_mov_b32_e32 v14, v36
	v_mov_b32_e32 v15, v37
	;; [unrolled: 1-line block ×4, first 2 shown]
	v_add_f64 v[233:234], v[156:157], -v[148:149]
	v_add_f64 v[46:47], v[166:167], -v[154:155]
	v_mul_f64 v[34:35], v[211:212], s[22:23]
	s_mov_b32 s50, 0x6c9a05f6
	s_mov_b32 s51, 0x3fe9895b
	v_add_f64 v[215:216], v[164:165], v[152:153]
	s_mov_b32 s34, 0x6ed5f1bb
	s_mov_b32 s35, 0xbfe348c8
	v_add_f64 v[221:222], v[166:167], v[154:155]
	v_add_f64 v[239:240], v[164:165], -v[152:153]
	v_add_f64 v[205:206], v[162:163], -v[146:147]
	s_mov_b32 s48, 0x2a9d6da3
	s_mov_b32 s49, 0x3fe58eea
	v_add_f64 v[213:214], v[160:161], v[144:145]
	s_mov_b32 s36, 0x75d4884
	v_mul_f64 v[38:39], v[223:224], s[26:27]
	s_mov_b32 s37, 0x3fe7a5f6
	v_add_f64 v[219:220], v[162:163], v[146:147]
	v_add_f64 v[231:232], v[160:161], -v[144:145]
	v_mul_f64 v[42:43], v[217:218], s[42:43]
	v_mul_f64 v[44:45], v[201:202], s[38:39]
	;; [unrolled: 1-line block ×3, first 2 shown]
	s_mov_b32 s45, 0x3fefdd0d
	v_mul_f64 v[36:37], v[46:47], s[50:51]
	s_mov_b32 s44, s24
	s_mov_b32 s47, 0xbfd71e95
	;; [unrolled: 1-line block ×5, first 2 shown]
	v_mul_f64 v[40:41], v[205:206], s[48:49]
	s_waitcnt vmcnt(0)
	v_add_f64 v[227:228], v[174:175], -v[20:21]
	v_add_f64 v[193:194], v[172:173], v[18:19]
	v_add_f64 v[195:196], v[174:175], v[20:21]
	v_add_f64 v[225:226], v[172:173], -v[18:19]
	v_mul_f64 v[28:29], v[227:228], s[28:29]
	v_mul_f64 v[30:31], v[195:196], s[18:19]
	v_fma_f64 v[0:1], v[251:252], s[8:9], -v[0:1]
	v_fma_f64 v[2:3], v[241:242], s[24:25], v[2:3]
	v_fma_f64 v[8:9], v[193:194], s[18:19], -v[28:29]
	v_add_f64 v[0:1], v[132:133], v[0:1]
	v_add_f64 v[2:3], v[134:135], v[2:3]
	;; [unrolled: 1-line block ×3, first 2 shown]
	v_fma_f64 v[4:5], v[225:226], s[28:29], v[30:31]
	v_add_f64 v[2:3], v[6:7], v[2:3]
	v_fma_f64 v[6:7], v[197:198], s[20:21], -v[24:25]
	v_add_f64 v[0:1], v[8:9], v[0:1]
	v_mul_f64 v[8:9], v[243:244], s[30:31]
	v_add_f64 v[2:3], v[4:5], v[2:3]
	v_fma_f64 v[4:5], v[237:238], s[16:17], v[32:33]
	v_add_f64 v[0:1], v[6:7], v[0:1]
	v_mul_f64 v[6:7], v[235:236], s[38:39]
	v_add_f64 v[2:3], v[4:5], v[2:3]
	v_fma_f64 v[4:5], v[203:204], s[22:23], -v[6:7]
	v_add_f64 v[0:1], v[4:5], v[0:1]
	v_fma_f64 v[4:5], v[245:246], s[38:39], v[34:35]
	v_add_f64 v[2:3], v[4:5], v[2:3]
	v_fma_f64 v[4:5], v[209:210], s[26:27], -v[8:9]
	v_add_f64 v[0:1], v[4:5], v[0:1]
	v_fma_f64 v[4:5], v[233:234], s[30:31], v[38:39]
	v_add_f64 v[2:3], v[4:5], v[2:3]
	v_fma_f64 v[4:5], v[215:216], s[34:35], -v[36:37]
	v_add_f64 v[0:1], v[4:5], v[0:1]
	v_mul_f64 v[4:5], v[221:222], s[34:35]
	buffer_store_dword v4, off, s[60:63], 0 offset:12 ; 4-byte Folded Spill
	buffer_store_dword v5, off, s[60:63], 0 offset:16 ; 4-byte Folded Spill
	v_fma_f64 v[4:5], v[239:240], s[50:51], v[4:5]
	v_add_f64 v[2:3], v[4:5], v[2:3]
	v_fma_f64 v[4:5], v[213:214], s[36:37], -v[40:41]
	v_add_f64 v[136:137], v[4:5], v[0:1]
	v_mul_f64 v[0:1], v[219:220], s[36:37]
	v_mul_f64 v[4:5], v[191:192], s[26:27]
	buffer_store_dword v0, off, s[60:63], 0 offset:284 ; 4-byte Folded Spill
	buffer_store_dword v1, off, s[60:63], 0 offset:288 ; 4-byte Folded Spill
	v_fma_f64 v[0:1], v[231:232], s[48:49], v[0:1]
	v_add_f64 v[138:139], v[0:1], v[2:3]
	v_mul_f64 v[0:1], v[247:248], s[40:41]
	v_fma_f64 v[2:3], v[189:190], s[26:27], -v[42:43]
	buffer_store_dword v0, off, s[60:63], 0 offset:372 ; 4-byte Folded Spill
	buffer_store_dword v1, off, s[60:63], 0 offset:376 ; 4-byte Folded Spill
	v_fma_f64 v[0:1], v[251:252], s[18:19], -v[0:1]
	v_add_f64 v[0:1], v[132:133], v[0:1]
	v_add_f64 v[0:1], v[2:3], v[0:1]
	v_mul_f64 v[2:3], v[253:254], s[18:19]
	buffer_store_dword v2, off, s[60:63], 0 offset:380 ; 4-byte Folded Spill
	buffer_store_dword v3, off, s[60:63], 0 offset:384 ; 4-byte Folded Spill
	;; [unrolled: 1-line block ×4, first 2 shown]
	v_fma_f64 v[2:3], v[241:242], s[40:41], v[2:3]
	v_fma_f64 v[4:5], v[207:208], s[42:43], v[4:5]
	v_add_f64 v[2:3], v[134:135], v[2:3]
	v_add_f64 v[2:3], v[4:5], v[2:3]
	v_mul_f64 v[4:5], v[227:228], s[48:49]
	buffer_store_dword v4, off, s[60:63], 0 offset:28 ; 4-byte Folded Spill
	buffer_store_dword v5, off, s[60:63], 0 offset:32 ; 4-byte Folded Spill
	v_fma_f64 v[4:5], v[193:194], s[36:37], -v[4:5]
	v_add_f64 v[0:1], v[4:5], v[0:1]
	v_mul_f64 v[4:5], v[195:196], s[36:37]
	buffer_store_dword v4, off, s[60:63], 0 offset:308 ; 4-byte Folded Spill
	buffer_store_dword v5, off, s[60:63], 0 offset:312 ; 4-byte Folded Spill
	v_fma_f64 v[4:5], v[225:226], s[48:49], v[4:5]
	v_add_f64 v[2:3], v[4:5], v[2:3]
	v_fma_f64 v[4:5], v[197:198], s[22:23], -v[44:45]
	v_add_f64 v[0:1], v[4:5], v[0:1]
	v_mul_f64 v[4:5], v[199:200], s[22:23]
	buffer_store_dword v4, off, s[60:63], 0 offset:316 ; 4-byte Folded Spill
	buffer_store_dword v5, off, s[60:63], 0 offset:320 ; 4-byte Folded Spill
	v_fma_f64 v[4:5], v[237:238], s[38:39], v[4:5]
	v_add_f64 v[2:3], v[4:5], v[2:3]
	;; [unrolled: 7-line block ×3, first 2 shown]
	v_mul_f64 v[4:5], v[243:244], s[44:45]
	buffer_store_dword v4, off, s[60:63], 0 offset:268 ; 4-byte Folded Spill
	buffer_store_dword v5, off, s[60:63], 0 offset:272 ; 4-byte Folded Spill
	v_fma_f64 v[4:5], v[209:210], s[8:9], -v[4:5]
	v_add_f64 v[0:1], v[4:5], v[0:1]
	v_mul_f64 v[4:5], v[223:224], s[8:9]
	buffer_store_dword v4, off, s[60:63], 0 offset:332 ; 4-byte Folded Spill
	buffer_store_dword v5, off, s[60:63], 0 offset:336 ; 4-byte Folded Spill
	v_fma_f64 v[4:5], v[233:234], s[44:45], v[4:5]
	v_add_f64 v[2:3], v[4:5], v[2:3]
	v_mul_f64 v[4:5], v[46:47], s[46:47]
	buffer_store_dword v4, off, s[60:63], 0 offset:276 ; 4-byte Folded Spill
	buffer_store_dword v5, off, s[60:63], 0 offset:280 ; 4-byte Folded Spill
	v_fma_f64 v[4:5], v[215:216], s[20:21], -v[4:5]
	v_add_f64 v[0:1], v[4:5], v[0:1]
	v_mul_f64 v[4:5], v[221:222], s[20:21]
	buffer_store_dword v4, off, s[60:63], 0 offset:340 ; 4-byte Folded Spill
	buffer_store_dword v5, off, s[60:63], 0 offset:344 ; 4-byte Folded Spill
	v_fma_f64 v[4:5], v[239:240], s[46:47], v[4:5]
	v_add_f64 v[2:3], v[4:5], v[2:3]
	v_mul_f64 v[4:5], v[205:206], s[52:53]
	buffer_store_dword v4, off, s[60:63], 0 offset:300 ; 4-byte Folded Spill
	buffer_store_dword v5, off, s[60:63], 0 offset:304 ; 4-byte Folded Spill
	s_waitcnt_vscnt null, 0x0
	s_barrier
	buffer_gl0_inv
	v_fma_f64 v[4:5], v[213:214], s[34:35], -v[4:5]
	v_add_f64 v[140:141], v[4:5], v[0:1]
	v_mul_f64 v[4:5], v[219:220], s[34:35]
	v_fma_f64 v[0:1], v[231:232], s[52:53], v[4:5]
	v_add_f64 v[142:143], v[0:1], v[2:3]
	s_and_saveexec_b32 s1, vcc_lo
	s_cbranch_execz .LBB0_17
; %bb.16:
	v_add_f64 v[0:1], v[134:135], v[186:187]
	v_add_f64 v[2:3], v[132:133], v[184:185]
	buffer_store_dword v4, off, s[60:63], 0 offset:396 ; 4-byte Folded Spill
	buffer_store_dword v5, off, s[60:63], 0 offset:400 ; 4-byte Folded Spill
	s_mov_b32 s57, 0xbfe58eea
	s_mov_b32 s56, s48
	;; [unrolled: 1-line block ×6, first 2 shown]
	v_add_f64 v[0:1], v[0:1], v[182:183]
	v_add_f64 v[2:3], v[2:3], v[180:181]
	;; [unrolled: 1-line block ×4, first 2 shown]
	v_mul_f64 v[174:175], v[231:232], s[44:45]
	v_add_f64 v[0:1], v[0:1], v[178:179]
	v_add_f64 v[2:3], v[2:3], v[176:177]
	v_mul_f64 v[176:177], v[205:206], s[44:45]
	v_add_f64 v[0:1], v[0:1], v[170:171]
	v_add_f64 v[2:3], v[2:3], v[168:169]
	;; [unrolled: 1-line block ×4, first 2 shown]
	v_mul_f64 v[158:159], v[225:226], s[28:29]
	v_add_f64 v[0:1], v[0:1], v[166:167]
	v_add_f64 v[2:3], v[2:3], v[164:165]
	;; [unrolled: 1-line block ×14, first 2 shown]
	v_mul_f64 v[124:125], v[247:248], s[46:47]
	v_mul_f64 v[126:127], v[247:248], s[56:57]
	v_add_f64 v[0:1], v[0:1], v[20:21]
	v_add_f64 v[2:3], v[2:3], v[18:19]
	v_mul_f64 v[18:19], v[241:242], s[38:39]
	v_mul_f64 v[20:21], v[241:242], s[46:47]
	v_fma_f64 v[148:149], v[251:252], s[20:21], v[124:125]
	v_fma_f64 v[124:125], v[251:252], s[20:21], -v[124:125]
	v_fma_f64 v[150:151], v[251:252], s[36:37], v[126:127]
	v_fma_f64 v[126:127], v[251:252], s[36:37], -v[126:127]
	v_add_f64 v[0:1], v[0:1], v[16:17]
	v_add_f64 v[4:5], v[2:3], v[14:15]
	v_mul_f64 v[16:17], v[241:242], s[52:53]
	v_mul_f64 v[14:15], v[241:242], s[30:31]
	v_add_f64 v[148:149], v[132:133], v[148:149]
	v_add_f64 v[2:3], v[0:1], v[12:13]
	;; [unrolled: 1-line block ×3, first 2 shown]
	v_mul_f64 v[4:5], v[241:242], s[40:41]
	v_mul_f64 v[10:11], v[251:252], s[8:9]
	;; [unrolled: 1-line block ×3, first 2 shown]
	buffer_store_dword v0, off, s[60:63], 0 offset:44 ; 4-byte Folded Spill
	buffer_store_dword v1, off, s[60:63], 0 offset:48 ; 4-byte Folded Spill
	;; [unrolled: 1-line block ×4, first 2 shown]
	s_clause 0x1
	buffer_load_dword v0, off, s[60:63], 0 offset:380
	buffer_load_dword v1, off, s[60:63], 0 offset:384
	buffer_store_dword v6, off, s[60:63], 0 offset:476 ; 4-byte Folded Spill
	buffer_store_dword v7, off, s[60:63], 0 offset:480 ; 4-byte Folded Spill
	v_mul_f64 v[6:7], v[251:252], s[18:19]
	v_mov_b32_e32 v2, v30
	v_mov_b32_e32 v3, v31
	v_fma_f64 v[30:31], v[253:254], s[22:23], v[18:19]
	v_fma_f64 v[18:19], v[253:254], s[22:23], -v[18:19]
	v_add_f64 v[158:159], v[2:3], -v[158:159]
	v_add_f64 v[18:19], v[134:135], v[18:19]
	s_waitcnt vmcnt(0)
	v_add_f64 v[4:5], v[0:1], -v[4:5]
	s_clause 0x1
	buffer_load_dword v0, off, s[60:63], 0 offset:372
	buffer_load_dword v1, off, s[60:63], 0 offset:376
	buffer_store_dword v8, off, s[60:63], 0 offset:468 ; 4-byte Folded Spill
	buffer_store_dword v9, off, s[60:63], 0 offset:472 ; 4-byte Folded Spill
	v_mul_f64 v[8:9], v[241:242], s[24:25]
	v_add_f64 v[4:5], v[134:135], v[4:5]
	s_waitcnt vmcnt(0)
	v_add_f64 v[6:7], v[6:7], v[0:1]
	s_clause 0x1
	buffer_load_dword v0, off, s[60:63], 0 offset:364
	buffer_load_dword v1, off, s[60:63], 0 offset:368
	s_waitcnt vmcnt(0)
	v_add_f64 v[8:9], v[0:1], -v[8:9]
	s_clause 0x1
	buffer_load_dword v0, off, s[60:63], 0 offset:348
	buffer_load_dword v1, off, s[60:63], 0 offset:352
	buffer_store_dword v24, off, s[60:63], 0 offset:508 ; 4-byte Folded Spill
	buffer_store_dword v25, off, s[60:63], 0 offset:512 ; 4-byte Folded Spill
	;; [unrolled: 1-line block ×6, first 2 shown]
	v_fma_f64 v[28:29], v[253:254], s[34:35], v[16:17]
	buffer_store_dword v44, off, s[60:63], 0 offset:452 ; 4-byte Folded Spill
	buffer_store_dword v45, off, s[60:63], 0 offset:456 ; 4-byte Folded Spill
	;; [unrolled: 1-line block ×10, first 2 shown]
	v_mul_f64 v[40:41], v[247:248], s[52:53]
	v_fma_f64 v[16:17], v[253:254], s[34:35], -v[16:17]
	buffer_store_dword v42, off, s[60:63], 0 offset:484 ; 4-byte Folded Spill
	buffer_store_dword v43, off, s[60:63], 0 offset:488 ; 4-byte Folded Spill
	v_mul_f64 v[42:43], v[247:248], s[38:39]
	v_mov_b32_e32 v45, v33
	v_mov_b32_e32 v44, v32
	v_fma_f64 v[32:33], v[253:254], s[20:21], -v[20:21]
	v_fma_f64 v[20:21], v[253:254], s[20:21], v[20:21]
	v_mov_b32_e32 v230, v35
	v_mov_b32_e32 v229, v34
	v_fma_f64 v[24:25], v[253:254], s[2:3], v[12:13]
	v_mul_f64 v[36:37], v[247:248], s[10:11]
	v_fma_f64 v[12:13], v[253:254], s[2:3], -v[12:13]
	v_fma_f64 v[26:27], v[253:254], s[26:27], v[14:15]
	v_mul_f64 v[38:39], v[247:248], s[30:31]
	v_fma_f64 v[14:15], v[253:254], s[26:27], -v[14:15]
	v_add_f64 v[28:29], v[134:135], v[28:29]
	buffer_store_dword v28, off, s[60:63], 0 offset:428 ; 4-byte Folded Spill
	buffer_store_dword v29, off, s[60:63], 0 offset:432 ; 4-byte Folded Spill
	v_fma_f64 v[144:145], v[251:252], s[34:35], -v[40:41]
	v_add_f64 v[16:17], v[134:135], v[16:17]
	v_fma_f64 v[40:41], v[251:252], s[34:35], v[40:41]
	v_fma_f64 v[146:147], v[251:252], s[22:23], -v[42:43]
	v_add_f64 v[24:25], v[134:135], v[24:25]
	v_fma_f64 v[128:129], v[251:252], s[2:3], -v[36:37]
	v_fma_f64 v[36:37], v[251:252], s[2:3], v[36:37]
	v_add_f64 v[12:13], v[134:135], v[12:13]
	v_fma_f64 v[130:131], v[251:252], s[26:27], -v[38:39]
	v_add_f64 v[26:27], v[134:135], v[26:27]
	v_fma_f64 v[38:39], v[251:252], s[26:27], v[38:39]
	v_add_f64 v[14:15], v[134:135], v[14:15]
	v_add_f64 v[32:33], v[134:135], v[32:33]
	v_fma_f64 v[42:43], v[251:252], s[22:23], v[42:43]
	v_add_f64 v[28:29], v[132:133], v[144:145]
	buffer_store_dword v28, off, s[60:63], 0 offset:420 ; 4-byte Folded Spill
	buffer_store_dword v29, off, s[60:63], 0 offset:424 ; 4-byte Folded Spill
	;; [unrolled: 1-line block ×4, first 2 shown]
	v_add_f64 v[16:17], v[132:133], v[40:41]
	buffer_store_dword v16, off, s[60:63], 0 offset:444 ; 4-byte Folded Spill
	buffer_store_dword v17, off, s[60:63], 0 offset:448 ; 4-byte Folded Spill
	;; [unrolled: 1-line block ×4, first 2 shown]
	v_add_f64 v[4:5], v[132:133], v[6:7]
	buffer_store_dword v4, off, s[60:63], 0 offset:516 ; 4-byte Folded Spill
	buffer_store_dword v5, off, s[60:63], 0 offset:520 ; 4-byte Folded Spill
	v_add_f64 v[4:5], v[134:135], v[8:9]
	buffer_store_dword v4, off, s[60:63], 0 offset:564 ; 4-byte Folded Spill
	buffer_store_dword v5, off, s[60:63], 0 offset:568 ; 4-byte Folded Spill
	v_mul_f64 v[8:9], v[207:208], s[16:17]
	v_add_f64 v[128:129], v[132:133], v[128:129]
	v_add_f64 v[36:37], v[132:133], v[36:37]
	;; [unrolled: 1-line block ×5, first 2 shown]
	s_waitcnt vmcnt(0)
	v_add_f64 v[10:11], v[10:11], v[0:1]
	v_mov_b32_e32 v0, v22
	v_mov_b32_e32 v1, v23
	v_mul_f64 v[22:23], v[241:242], s[56:57]
	v_add_f64 v[4:5], v[132:133], v[10:11]
	v_mul_f64 v[10:11], v[217:218], s[16:17]
	buffer_store_dword v4, off, s[60:63], 0 offset:556 ; 4-byte Folded Spill
	buffer_store_dword v5, off, s[60:63], 0 offset:560 ; 4-byte Folded Spill
	v_add_f64 v[4:5], v[134:135], v[30:31]
	v_fma_f64 v[34:35], v[253:254], s[36:37], -v[22:23]
	v_fma_f64 v[22:23], v[253:254], s[36:37], v[22:23]
	v_fma_f64 v[6:7], v[189:190], s[20:21], -v[10:11]
	v_fma_f64 v[10:11], v[189:190], s[20:21], v[10:11]
	buffer_store_dword v4, off, s[60:63], 0 offset:412 ; 4-byte Folded Spill
	buffer_store_dword v5, off, s[60:63], 0 offset:416 ; 4-byte Folded Spill
	v_add_f64 v[4:5], v[132:133], v[146:147]
	buffer_store_dword v4, off, s[60:63], 0 offset:404 ; 4-byte Folded Spill
	buffer_store_dword v5, off, s[60:63], 0 offset:408 ; 4-byte Folded Spill
	v_add_f64 v[4:5], v[134:135], v[20:21]
	v_add_f64 v[6:7], v[6:7], v[128:129]
	;; [unrolled: 1-line block ×5, first 2 shown]
	v_mul_f64 v[36:37], v[225:226], s[24:25]
	buffer_store_dword v4, off, s[60:63], 0 offset:372 ; 4-byte Folded Spill
	buffer_store_dword v5, off, s[60:63], 0 offset:376 ; 4-byte Folded Spill
	v_add_f64 v[4:5], v[132:133], v[124:125]
	buffer_store_dword v4, off, s[60:63], 0 offset:364 ; 4-byte Folded Spill
	buffer_store_dword v5, off, s[60:63], 0 offset:368 ; 4-byte Folded Spill
	v_add_f64 v[4:5], v[134:135], v[22:23]
	v_mul_f64 v[22:23], v[225:226], s[30:31]
	buffer_store_dword v4, off, s[60:63], 0 offset:388 ; 4-byte Folded Spill
	buffer_store_dword v5, off, s[60:63], 0 offset:392 ; 4-byte Folded Spill
	v_add_f64 v[4:5], v[132:133], v[126:127]
	buffer_store_dword v4, off, s[60:63], 0 offset:380 ; 4-byte Folded Spill
	buffer_store_dword v5, off, s[60:63], 0 offset:384 ; 4-byte Folded Spill
	v_fma_f64 v[4:5], v[191:192], s[20:21], v[8:9]
	v_fma_f64 v[8:9], v[191:192], s[20:21], -v[8:9]
	v_add_f64 v[4:5], v[4:5], v[24:25]
	v_fma_f64 v[24:25], v[195:196], s[26:27], v[22:23]
	v_add_f64 v[8:9], v[8:9], v[12:13]
	v_fma_f64 v[12:13], v[195:196], s[26:27], -v[22:23]
	v_fma_f64 v[22:23], v[213:214], s[8:9], v[176:177]
	v_add_f64 v[4:5], v[24:25], v[4:5]
	v_mul_f64 v[24:25], v[227:228], s[30:31]
	v_add_f64 v[8:9], v[12:13], v[8:9]
	v_fma_f64 v[124:125], v[193:194], s[26:27], -v[24:25]
	v_fma_f64 v[12:13], v[193:194], s[26:27], v[24:25]
	v_mul_f64 v[24:25], v[217:218], s[54:55]
	v_add_f64 v[6:7], v[124:125], v[6:7]
	v_mul_f64 v[124:125], v[237:238], s[48:49]
	v_add_f64 v[10:11], v[12:13], v[10:11]
	v_fma_f64 v[126:127], v[199:200], s[36:37], v[124:125]
	v_fma_f64 v[12:13], v[199:200], s[36:37], -v[124:125]
	v_fma_f64 v[124:125], v[195:196], s[8:9], v[36:37]
	v_add_f64 v[4:5], v[126:127], v[4:5]
	v_mul_f64 v[126:127], v[201:202], s[48:49]
	v_add_f64 v[8:9], v[12:13], v[8:9]
	v_fma_f64 v[128:129], v[197:198], s[36:37], -v[126:127]
	v_fma_f64 v[12:13], v[197:198], s[36:37], v[126:127]
	v_add_f64 v[6:7], v[128:129], v[6:7]
	v_mul_f64 v[128:129], v[245:246], s[52:53]
	v_add_f64 v[10:11], v[12:13], v[10:11]
	v_fma_f64 v[150:151], v[211:212], s[34:35], v[128:129]
	v_fma_f64 v[12:13], v[211:212], s[34:35], -v[128:129]
	v_mul_f64 v[128:129], v[227:228], s[24:25]
	v_add_f64 v[4:5], v[150:151], v[4:5]
	v_mul_f64 v[150:151], v[235:236], s[52:53]
	v_add_f64 v[8:9], v[12:13], v[8:9]
	v_fma_f64 v[164:165], v[203:204], s[34:35], -v[150:151]
	v_fma_f64 v[12:13], v[203:204], s[34:35], v[150:151]
	v_mul_f64 v[150:151], v[201:202], s[50:51]
	v_add_f64 v[6:7], v[164:165], v[6:7]
	v_mul_f64 v[164:165], v[233:234], s[54:55]
	v_add_f64 v[10:11], v[12:13], v[10:11]
	v_fma_f64 v[166:167], v[223:224], s[22:23], v[164:165]
	v_fma_f64 v[12:13], v[223:224], s[22:23], -v[164:165]
	v_mul_f64 v[164:165], v[245:246], s[46:47]
	v_add_f64 v[4:5], v[166:167], v[4:5]
	v_mul_f64 v[166:167], v[243:244], s[54:55]
	v_add_f64 v[8:9], v[12:13], v[8:9]
	v_fma_f64 v[168:169], v[209:210], s[22:23], -v[166:167]
	v_fma_f64 v[12:13], v[209:210], s[22:23], v[166:167]
	v_mul_f64 v[166:167], v[235:236], s[46:47]
	v_add_f64 v[6:7], v[168:169], v[6:7]
	v_mul_f64 v[168:169], v[239:240], s[40:41]
	v_add_f64 v[10:11], v[12:13], v[10:11]
	v_fma_f64 v[170:171], v[221:222], s[18:19], v[168:169]
	v_fma_f64 v[12:13], v[221:222], s[18:19], -v[168:169]
	v_mul_f64 v[168:169], v[233:234], s[10:11]
	v_add_f64 v[4:5], v[170:171], v[4:5]
	v_mul_f64 v[170:171], v[46:47], s[40:41]
	v_add_f64 v[8:9], v[12:13], v[8:9]
	v_fma_f64 v[12:13], v[215:216], s[18:19], v[170:171]
	v_fma_f64 v[172:173], v[215:216], s[18:19], -v[170:171]
	v_mul_f64 v[170:171], v[243:244], s[10:11]
	v_add_f64 v[12:13], v[12:13], v[10:11]
	v_fma_f64 v[10:11], v[219:220], s[8:9], -v[174:175]
	v_add_f64 v[172:173], v[172:173], v[6:7]
	v_fma_f64 v[6:7], v[219:220], s[8:9], v[174:175]
	v_mul_f64 v[174:175], v[46:47], s[48:49]
	v_add_f64 v[10:11], v[10:11], v[8:9]
	v_add_f64 v[8:9], v[22:23], v[12:13]
	v_mul_f64 v[12:13], v[207:208], s[54:55]
	v_add_f64 v[6:7], v[6:7], v[4:5]
	v_fma_f64 v[4:5], v[213:214], s[8:9], -v[176:177]
	v_mul_f64 v[176:177], v[231:232], s[40:41]
	v_fma_f64 v[22:23], v[191:192], s[22:23], v[12:13]
	v_fma_f64 v[12:13], v[191:192], s[22:23], -v[12:13]
	v_add_f64 v[4:5], v[4:5], v[172:173]
	v_mul_f64 v[172:173], v[239:240], s[48:49]
	buffer_store_dword v4, off, s[60:63], 0 offset:348 ; 4-byte Folded Spill
	buffer_store_dword v5, off, s[60:63], 0 offset:352 ; 4-byte Folded Spill
	;; [unrolled: 1-line block ×4, first 2 shown]
	v_add_f64 v[22:23], v[22:23], v[26:27]
	v_fma_f64 v[26:27], v[189:190], s[22:23], -v[24:25]
	v_add_f64 v[12:13], v[12:13], v[14:15]
	v_fma_f64 v[14:15], v[189:190], s[22:23], v[24:25]
	v_fma_f64 v[24:25], v[195:196], s[8:9], -v[36:37]
	v_add_f64 v[22:23], v[124:125], v[22:23]
	v_add_f64 v[26:27], v[26:27], v[130:131]
	v_fma_f64 v[124:125], v[193:194], s[8:9], -v[128:129]
	v_mul_f64 v[130:131], v[237:238], s[50:51]
	v_add_f64 v[14:15], v[14:15], v[38:39]
	v_add_f64 v[12:13], v[24:25], v[12:13]
	v_fma_f64 v[24:25], v[193:194], s[8:9], v[128:129]
	v_mul_f64 v[38:39], v[207:208], s[24:25]
	v_add_f64 v[26:27], v[124:125], v[26:27]
	v_fma_f64 v[124:125], v[199:200], s[34:35], v[130:131]
	v_add_f64 v[14:15], v[24:25], v[14:15]
	v_fma_f64 v[24:25], v[199:200], s[34:35], -v[130:131]
	v_add_f64 v[22:23], v[124:125], v[22:23]
	v_fma_f64 v[124:125], v[197:198], s[34:35], -v[150:151]
	v_add_f64 v[12:13], v[24:25], v[12:13]
	v_fma_f64 v[24:25], v[197:198], s[34:35], v[150:151]
	v_add_f64 v[26:27], v[124:125], v[26:27]
	v_fma_f64 v[124:125], v[211:212], s[20:21], v[164:165]
	v_add_f64 v[14:15], v[24:25], v[14:15]
	v_fma_f64 v[24:25], v[211:212], s[20:21], -v[164:165]
	v_add_f64 v[22:23], v[124:125], v[22:23]
	v_fma_f64 v[124:125], v[203:204], s[20:21], -v[166:167]
	v_add_f64 v[12:13], v[24:25], v[12:13]
	v_fma_f64 v[24:25], v[203:204], s[20:21], v[166:167]
	;; [unrolled: 8-line block ×4, first 2 shown]
	v_add_f64 v[26:27], v[124:125], v[26:27]
	v_fma_f64 v[124:125], v[219:220], s[18:19], v[176:177]
	v_add_f64 v[14:15], v[24:25], v[14:15]
	v_fma_f64 v[24:25], v[219:220], s[18:19], -v[176:177]
	v_add_f64 v[126:127], v[124:125], v[22:23]
	v_mul_f64 v[22:23], v[205:206], s[40:41]
	v_add_f64 v[130:131], v[24:25], v[12:13]
	v_mul_f64 v[12:13], v[207:208], s[56:57]
	v_fma_f64 v[124:125], v[213:214], s[18:19], -v[22:23]
	v_fma_f64 v[22:23], v[213:214], s[18:19], v[22:23]
	v_add_f64 v[124:125], v[124:125], v[26:27]
	v_add_f64 v[128:129], v[22:23], v[14:15]
	v_fma_f64 v[14:15], v[191:192], s[36:37], -v[12:13]
	v_mul_f64 v[26:27], v[207:208], s[52:53]
	v_mul_f64 v[22:23], v[217:218], s[56:57]
	v_fma_f64 v[12:13], v[191:192], s[36:37], v[12:13]
	v_add_f64 v[14:15], v[14:15], v[32:33]
	v_fma_f64 v[32:33], v[191:192], s[34:35], -v[26:27]
	v_fma_f64 v[24:25], v[189:190], s[36:37], v[22:23]
	v_fma_f64 v[22:23], v[189:190], s[36:37], -v[22:23]
	v_add_f64 v[18:19], v[32:33], v[18:19]
	v_mul_f64 v[32:33], v[217:218], s[52:53]
	v_add_f64 v[24:25], v[24:25], v[148:149]
	v_fma_f64 v[36:37], v[189:190], s[34:35], v[32:33]
	v_add_f64 v[36:37], v[36:37], v[42:43]
	v_fma_f64 v[42:43], v[191:192], s[8:9], -v[38:39]
	v_add_f64 v[20:21], v[42:43], v[20:21]
	v_mul_f64 v[42:43], v[217:218], s[24:25]
	v_fma_f64 v[148:149], v[189:190], s[8:9], v[42:43]
	v_add_f64 v[34:35], v[148:149], v[34:35]
	v_mul_f64 v[148:149], v[225:226], s[38:39]
	v_fma_f64 v[150:151], v[195:196], s[22:23], -v[148:149]
	v_add_f64 v[14:15], v[150:151], v[14:15]
	v_mul_f64 v[150:151], v[227:228], s[38:39]
	v_fma_f64 v[164:165], v[193:194], s[22:23], v[150:151]
	v_add_f64 v[24:25], v[164:165], v[24:25]
	v_mul_f64 v[164:165], v[225:226], s[58:59]
	v_fma_f64 v[166:167], v[195:196], s[2:3], -v[164:165]
	v_add_f64 v[18:19], v[166:167], v[18:19]
	v_mul_f64 v[166:167], v[225:226], s[52:53]
	v_fma_f64 v[168:169], v[195:196], s[34:35], -v[166:167]
	v_add_f64 v[20:21], v[168:169], v[20:21]
	v_mul_f64 v[168:169], v[227:228], s[52:53]
	v_fma_f64 v[170:171], v[193:194], s[34:35], v[168:169]
	v_add_f64 v[34:35], v[170:171], v[34:35]
	v_mul_f64 v[170:171], v[237:238], s[24:25]
	v_fma_f64 v[172:173], v[199:200], s[8:9], -v[170:171]
	v_add_f64 v[14:15], v[172:173], v[14:15]
	v_mul_f64 v[172:173], v[201:202], s[24:25]
	v_fma_f64 v[174:175], v[197:198], s[8:9], v[172:173]
	;; [unrolled: 6-line block ×7, first 2 shown]
	v_add_f64 v[34:35], v[252:253], v[34:35]
	v_mul_f64 v[252:253], v[239:240], s[30:31]
	v_fma_f64 v[144:145], v[221:222], s[26:27], -v[252:253]
	v_add_f64 v[4:5], v[144:145], v[14:15]
	v_mul_f64 v[144:145], v[46:47], s[30:31]
	buffer_store_dword v4, off, s[60:63], 0 offset:572 ; 4-byte Folded Spill
	buffer_store_dword v5, off, s[60:63], 0 offset:576 ; 4-byte Folded Spill
	v_fma_f64 v[146:147], v[215:216], s[26:27], v[144:145]
	v_mul_f64 v[14:15], v[193:194], s[18:19]
	v_fma_f64 v[144:145], v[215:216], s[26:27], -v[144:145]
	v_add_f64 v[4:5], v[146:147], v[24:25]
	v_mul_f64 v[146:147], v[239:240], s[54:55]
	buffer_store_dword v4, off, s[60:63], 0 offset:580 ; 4-byte Folded Spill
	buffer_store_dword v5, off, s[60:63], 0 offset:584 ; 4-byte Folded Spill
	v_fma_f64 v[132:133], v[221:222], s[22:23], -v[146:147]
	v_mul_f64 v[24:25], v[189:190], s[26:27]
	v_fma_f64 v[146:147], v[221:222], s[22:23], v[146:147]
	v_add_f64 v[4:5], v[132:133], v[20:21]
	v_mul_f64 v[132:133], v[46:47], s[54:55]
	buffer_store_dword v4, off, s[60:63], 0 offset:588 ; 4-byte Folded Spill
	buffer_store_dword v5, off, s[60:63], 0 offset:592 ; 4-byte Folded Spill
	v_fma_f64 v[134:135], v[215:216], s[22:23], v[132:133]
	v_mul_f64 v[20:21], v[237:238], s[38:39]
	v_fma_f64 v[132:133], v[215:216], s[22:23], -v[132:133]
	v_add_f64 v[4:5], v[134:135], v[34:35]
	v_mul_f64 v[134:135], v[237:238], s[28:29]
	buffer_store_dword v4, off, s[60:63], 0 offset:596 ; 4-byte Folded Spill
	buffer_store_dword v5, off, s[60:63], 0 offset:600 ; 4-byte Folded Spill
	v_fma_f64 v[162:163], v[199:200], s[18:19], -v[134:135]
	v_mul_f64 v[34:35], v[245:246], s[10:11]
	v_add_f64 v[18:19], v[162:163], v[18:19]
	v_mul_f64 v[162:163], v[227:228], s[58:59]
	v_fma_f64 v[30:31], v[193:194], s[2:3], v[162:163]
	v_add_f64 v[30:31], v[30:31], v[36:37]
	v_mul_f64 v[36:37], v[245:246], s[48:49]
	v_fma_f64 v[152:153], v[211:212], s[36:37], -v[36:37]
	v_add_f64 v[18:19], v[152:153], v[18:19]
	v_mul_f64 v[152:153], v[201:202], s[28:29]
	v_fma_f64 v[28:29], v[197:198], s[18:19], v[152:153]
	v_add_f64 v[28:29], v[28:29], v[30:31]
	v_mul_f64 v[30:31], v[233:234], s[46:47]
	v_fma_f64 v[40:41], v[223:224], s[20:21], -v[30:31]
	v_add_f64 v[18:19], v[40:41], v[18:19]
	v_mul_f64 v[40:41], v[235:236], s[48:49]
	v_fma_f64 v[16:17], v[203:204], s[36:37], v[40:41]
	v_add_f64 v[16:17], v[16:17], v[28:29]
	v_mul_f64 v[28:29], v[243:244], s[46:47]
	v_fma_f64 v[156:157], v[209:210], s[20:21], v[28:29]
	v_fma_f64 v[28:29], v[209:210], s[20:21], -v[28:29]
	v_add_f64 v[16:17], v[156:157], v[16:17]
	v_mul_f64 v[156:157], v[239:240], s[24:25]
	v_fma_f64 v[154:155], v[221:222], s[8:9], -v[156:157]
	v_fma_f64 v[156:157], v[221:222], s[8:9], v[156:157]
	v_add_f64 v[154:155], v[154:155], v[18:19]
	v_mul_f64 v[18:19], v[46:47], s[24:25]
	v_fma_f64 v[160:161], v[215:216], s[8:9], v[18:19]
	v_fma_f64 v[18:19], v[215:216], s[8:9], -v[18:19]
	v_add_f64 v[160:161], v[160:161], v[16:17]
	v_mul_f64 v[16:17], v[207:208], s[10:11]
	v_add_f64 v[16:17], v[0:1], -v[16:17]
	s_clause 0x3
	buffer_load_dword v0, off, s[60:63], 0 offset:564
	buffer_load_dword v1, off, s[60:63], 0 offset:568
	;; [unrolled: 1-line block ×4, first 2 shown]
	s_waitcnt vmcnt(2)
	v_add_f64 v[16:17], v[16:17], v[0:1]
	v_mul_f64 v[0:1], v[237:238], s[16:17]
	v_add_f64 v[2:3], v[158:159], v[16:17]
	v_mul_f64 v[16:17], v[189:190], s[2:3]
	v_add_f64 v[0:1], v[44:45], -v[0:1]
	v_mul_f64 v[158:159], v[245:246], s[38:39]
	s_waitcnt vmcnt(0)
	v_add_f64 v[16:17], v[16:17], v[4:5]
	s_clause 0x1
	buffer_load_dword v4, off, s[60:63], 0 offset:524
	buffer_load_dword v5, off, s[60:63], 0 offset:528
	v_add_f64 v[0:1], v[0:1], v[2:3]
	v_mul_f64 v[2:3], v[197:198], s[20:21]
	v_add_f64 v[158:159], v[229:230], -v[158:159]
	v_add_f64 v[0:1], v[158:159], v[0:1]
	v_mul_f64 v[158:159], v[203:204], s[22:23]
	s_waitcnt vmcnt(0)
	v_add_f64 v[14:15], v[14:15], v[4:5]
	s_clause 0x1
	buffer_load_dword v4, off, s[60:63], 0 offset:556
	buffer_load_dword v5, off, s[60:63], 0 offset:560
	s_waitcnt vmcnt(0)
	v_add_f64 v[16:17], v[16:17], v[4:5]
	s_clause 0x1
	buffer_load_dword v4, off, s[60:63], 0 offset:508
	buffer_load_dword v5, off, s[60:63], 0 offset:512
	v_add_f64 v[14:15], v[14:15], v[16:17]
	v_mul_f64 v[16:17], v[233:234], s[30:31]
	s_waitcnt vmcnt(0)
	v_add_f64 v[2:3], v[2:3], v[4:5]
	s_clause 0x1
	buffer_load_dword v4, off, s[60:63], 0 offset:540
	buffer_load_dword v5, off, s[60:63], 0 offset:544
	v_add_f64 v[2:3], v[2:3], v[14:15]
	v_mul_f64 v[14:15], v[239:240], s[50:51]
	s_waitcnt vmcnt(0)
	v_add_f64 v[16:17], v[4:5], -v[16:17]
	s_clause 0x1
	buffer_load_dword v4, off, s[60:63], 0 offset:476
	buffer_load_dword v5, off, s[60:63], 0 offset:480
	v_add_f64 v[0:1], v[16:17], v[0:1]
	v_mul_f64 v[16:17], v[209:210], s[26:27]
	s_waitcnt vmcnt(0)
	v_add_f64 v[158:159], v[158:159], v[4:5]
	s_clause 0x1
	buffer_load_dword v4, off, s[60:63], 0 offset:12
	buffer_load_dword v5, off, s[60:63], 0 offset:16
	v_add_f64 v[2:3], v[158:159], v[2:3]
	v_mul_f64 v[158:159], v[231:232], s[48:49]
	s_waitcnt vmcnt(0)
	v_add_f64 v[14:15], v[4:5], -v[14:15]
	;; [unrolled: 14-line block ×3, first 2 shown]
	s_clause 0x1
	buffer_load_dword v4, off, s[60:63], 0 offset:500
	buffer_load_dword v5, off, s[60:63], 0 offset:504
	s_waitcnt vmcnt(0)
	v_add_f64 v[14:15], v[14:15], v[4:5]
	s_clause 0x1
	buffer_load_dword v4, off, s[60:63], 0 offset:492
	buffer_load_dword v5, off, s[60:63], 0 offset:496
	v_add_f64 v[2:3], v[14:15], v[2:3]
	v_mul_f64 v[14:15], v[207:208], s[42:43]
	s_waitcnt vmcnt(0)
	v_add_f64 v[229:230], v[16:17], v[4:5]
	s_clause 0x1
	buffer_load_dword v4, off, s[60:63], 0 offset:292
	buffer_load_dword v5, off, s[60:63], 0 offset:296
	v_mul_f64 v[16:17], v[225:226], s[48:49]
	s_waitcnt vmcnt(0)
	v_add_f64 v[14:15], v[4:5], -v[14:15]
	s_clause 0x1
	buffer_load_dword v4, off, s[60:63], 0 offset:308
	buffer_load_dword v5, off, s[60:63], 0 offset:312
	s_waitcnt vmcnt(0)
	v_add_f64 v[16:17], v[4:5], -v[16:17]
	s_clause 0x1
	buffer_load_dword v4, off, s[60:63], 0 offset:548
	buffer_load_dword v5, off, s[60:63], 0 offset:552
	s_waitcnt vmcnt(0)
	v_add_f64 v[14:15], v[14:15], v[4:5]
	s_clause 0x1
	buffer_load_dword v4, off, s[60:63], 0 offset:484
	buffer_load_dword v5, off, s[60:63], 0 offset:488
	v_add_f64 v[14:15], v[16:17], v[14:15]
	v_mul_f64 v[16:17], v[193:194], s[36:37]
	s_waitcnt vmcnt(0)
	v_add_f64 v[24:25], v[24:25], v[4:5]
	s_clause 0x1
	buffer_load_dword v4, off, s[60:63], 0 offset:316
	buffer_load_dword v5, off, s[60:63], 0 offset:320
	s_waitcnt vmcnt(0)
	v_add_f64 v[20:21], v[4:5], -v[20:21]
	s_clause 0x1
	buffer_load_dword v4, off, s[60:63], 0 offset:28
	buffer_load_dword v5, off, s[60:63], 0 offset:32
	v_add_f64 v[14:15], v[20:21], v[14:15]
	v_mul_f64 v[20:21], v[239:240], s[46:47]
	s_waitcnt vmcnt(0)
	v_add_f64 v[16:17], v[16:17], v[4:5]
	s_clause 0x1
	buffer_load_dword v4, off, s[60:63], 0 offset:516
	buffer_load_dword v5, off, s[60:63], 0 offset:520
	s_waitcnt vmcnt(0)
	v_add_f64 v[24:25], v[24:25], v[4:5]
	s_clause 0x1
	buffer_load_dword v4, off, s[60:63], 0 offset:324
	buffer_load_dword v5, off, s[60:63], 0 offset:328
	v_add_f64 v[16:17], v[16:17], v[24:25]
	v_mul_f64 v[24:25], v[203:204], s[2:3]
	s_waitcnt vmcnt(0)
	v_add_f64 v[34:35], v[4:5], -v[34:35]
	s_clause 0x5
	buffer_load_dword v4, off, s[60:63], 0 offset:340
	buffer_load_dword v5, off, s[60:63], 0 offset:344
	;; [unrolled: 1-line block ×6, first 2 shown]
	v_add_f64 v[14:15], v[34:35], v[14:15]
	s_clause 0x1
	buffer_load_dword v34, off, s[60:63], 0 offset:436
	buffer_load_dword v35, off, s[60:63], 0 offset:440
	s_waitcnt vmcnt(6)
	v_add_f64 v[20:21], v[4:5], -v[20:21]
	v_mul_f64 v[4:5], v[233:234], s[44:45]
	v_mul_f64 v[233:234], v[233:234], s[56:57]
	s_waitcnt vmcnt(0)
	v_add_f64 v[24:25], v[24:25], v[34:35]
	v_add_f64 v[4:5], v[6:7], -v[4:5]
	v_mul_f64 v[6:7], v[197:198], s[22:23]
	v_add_f64 v[4:5], v[4:5], v[14:15]
	v_add_f64 v[6:7], v[6:7], v[44:45]
	v_mul_f64 v[14:15], v[209:210], s[8:9]
	v_add_f64 v[4:5], v[20:21], v[4:5]
	v_add_f64 v[6:7], v[6:7], v[16:17]
	s_clause 0x1
	buffer_load_dword v16, off, s[60:63], 0 offset:268
	buffer_load_dword v17, off, s[60:63], 0 offset:272
	v_add_f64 v[6:7], v[24:25], v[6:7]
	s_clause 0x3
	buffer_load_dword v24, off, s[60:63], 0 offset:396
	buffer_load_dword v25, off, s[60:63], 0 offset:400
	;; [unrolled: 1-line block ×4, first 2 shown]
	s_waitcnt vmcnt(4)
	v_add_f64 v[14:15], v[14:15], v[16:17]
	v_mul_f64 v[16:17], v[231:232], s[52:53]
	v_add_f64 v[6:7], v[14:15], v[6:7]
	s_waitcnt vmcnt(2)
	v_add_f64 v[34:35], v[24:25], -v[16:17]
	v_mul_f64 v[16:17], v[215:216], s[20:21]
	v_mul_f64 v[14:15], v[213:214], s[34:35]
	s_waitcnt vmcnt(0)
	v_add_f64 v[16:17], v[16:17], v[20:21]
	s_clause 0x1
	buffer_load_dword v20, off, s[60:63], 0 offset:300
	buffer_load_dword v21, off, s[60:63], 0 offset:304
	v_add_f64 v[6:7], v[16:17], v[6:7]
	s_waitcnt vmcnt(0)
	v_add_f64 v[44:45], v[14:15], v[20:21]
	s_clause 0x1
	buffer_load_dword v20, off, s[60:63], 0 offset:460
	buffer_load_dword v21, off, s[60:63], 0 offset:464
	v_mul_f64 v[14:15], v[207:208], s[28:29]
	v_fma_f64 v[16:17], v[191:192], s[18:19], -v[14:15]
	v_fma_f64 v[14:15], v[191:192], s[18:19], v[14:15]
	s_waitcnt vmcnt(0)
	v_add_f64 v[16:17], v[16:17], v[20:21]
	v_mul_f64 v[20:21], v[225:226], s[46:47]
	v_fma_f64 v[24:25], v[195:196], s[20:21], -v[20:21]
	v_fma_f64 v[20:21], v[195:196], s[20:21], v[20:21]
	v_add_f64 v[16:17], v[24:25], v[16:17]
	v_mul_f64 v[24:25], v[237:238], s[30:31]
	v_fma_f64 v[207:208], v[199:200], s[26:27], -v[24:25]
	v_fma_f64 v[24:25], v[199:200], s[26:27], v[24:25]
	v_add_f64 v[16:17], v[207:208], v[16:17]
	v_mul_f64 v[207:208], v[245:246], s[44:45]
	v_mul_f64 v[245:246], v[227:228], s[46:47]
	v_fma_f64 v[225:226], v[211:212], s[8:9], -v[207:208]
	v_add_f64 v[16:17], v[225:226], v[16:17]
	v_mul_f64 v[225:226], v[217:218], s[28:29]
	s_clause 0x1
	buffer_load_dword v217, off, s[60:63], 0 offset:444
	buffer_load_dword v218, off, s[60:63], 0 offset:448
	v_fma_f64 v[237:238], v[189:190], s[18:19], v[225:226]
	v_fma_f64 v[225:226], v[189:190], s[18:19], -v[225:226]
	s_waitcnt vmcnt(0)
	v_add_f64 v[237:238], v[237:238], v[217:218]
	v_fma_f64 v[217:218], v[193:194], s[20:21], v[245:246]
	v_add_f64 v[217:218], v[217:218], v[237:238]
	v_fma_f64 v[237:238], v[223:224], s[36:37], -v[233:234]
	v_add_f64 v[16:17], v[237:238], v[16:17]
	v_mul_f64 v[237:238], v[201:202], s[30:31]
	s_clause 0x1
	buffer_load_dword v201, off, s[60:63], 0 offset:428
	buffer_load_dword v202, off, s[60:63], 0 offset:432
	v_fma_f64 v[227:228], v[197:198], s[26:27], v[237:238]
	v_add_f64 v[217:218], v[227:228], v[217:218]
	v_mul_f64 v[227:228], v[239:240], s[10:11]
	v_fma_f64 v[239:240], v[221:222], s[2:3], -v[227:228]
	v_add_f64 v[239:240], v[239:240], v[16:17]
	v_mul_f64 v[16:17], v[235:236], s[44:45]
	v_fma_f64 v[235:236], v[203:204], s[8:9], v[16:17]
	v_fma_f64 v[16:17], v[203:204], s[8:9], -v[16:17]
	v_add_f64 v[217:218], v[235:236], v[217:218]
	v_mul_f64 v[235:236], v[243:244], s[56:57]
	v_fma_f64 v[243:244], v[209:210], s[36:37], v[235:236]
	v_add_f64 v[217:218], v[243:244], v[217:218]
	s_waitcnt vmcnt(0)
	v_add_f64 v[14:15], v[14:15], v[201:202]
	s_clause 0x1
	buffer_load_dword v201, off, s[60:63], 0 offset:420
	buffer_load_dword v202, off, s[60:63], 0 offset:424
	v_add_f64 v[14:15], v[20:21], v[14:15]
	v_fma_f64 v[20:21], v[193:194], s[20:21], -v[245:246]
	v_add_f64 v[14:15], v[24:25], v[14:15]
	v_fma_f64 v[24:25], v[211:212], s[8:9], v[207:208]
	v_add_f64 v[14:15], v[24:25], v[14:15]
	v_fma_f64 v[24:25], v[197:198], s[26:27], -v[237:238]
	s_waitcnt vmcnt(0)
	v_add_f64 v[225:226], v[225:226], v[201:202]
	v_add_f64 v[20:21], v[20:21], v[225:226]
	v_add_f64 v[20:21], v[24:25], v[20:21]
	v_fma_f64 v[24:25], v[223:224], s[36:37], v[233:234]
	v_add_f64 v[16:17], v[16:17], v[20:21]
	v_add_f64 v[14:15], v[24:25], v[14:15]
	v_fma_f64 v[20:21], v[209:210], s[36:37], -v[235:236]
	s_clause 0x1
	buffer_load_dword v24, off, s[60:63], 0 offset:412
	buffer_load_dword v25, off, s[60:63], 0 offset:416
	v_add_f64 v[16:17], v[20:21], v[16:17]
	v_fma_f64 v[20:21], v[191:192], s[34:35], v[26:27]
	s_clause 0x1
	buffer_load_dword v26, off, s[60:63], 0 offset:404
	buffer_load_dword v27, off, s[60:63], 0 offset:408
	s_waitcnt vmcnt(2)
	v_add_f64 v[20:21], v[20:21], v[24:25]
	v_fma_f64 v[24:25], v[189:190], s[34:35], -v[32:33]
	s_waitcnt vmcnt(0)
	v_add_f64 v[24:25], v[24:25], v[26:27]
	v_fma_f64 v[26:27], v[195:196], s[2:3], v[164:165]
	v_mul_f64 v[164:165], v[231:232], s[54:55]
	v_add_f64 v[20:21], v[26:27], v[20:21]
	v_fma_f64 v[26:27], v[193:194], s[2:3], -v[162:163]
	v_fma_f64 v[162:163], v[221:222], s[2:3], v[227:228]
	v_add_f64 v[24:25], v[26:27], v[24:25]
	v_fma_f64 v[26:27], v[199:200], s[18:19], v[134:135]
	v_fma_f64 v[134:135], v[223:224], s[34:35], v[186:187]
	v_add_f64 v[162:163], v[162:163], v[14:15]
	v_add_f64 v[20:21], v[26:27], v[20:21]
	v_fma_f64 v[26:27], v[197:198], s[18:19], -v[152:153]
	v_mul_f64 v[152:153], v[205:206], s[16:17]
	v_add_f64 v[24:25], v[26:27], v[24:25]
	v_fma_f64 v[26:27], v[211:212], s[36:37], v[36:37]
	v_add_f64 v[20:21], v[26:27], v[20:21]
	v_fma_f64 v[26:27], v[203:204], s[36:37], -v[40:41]
	v_mul_f64 v[40:41], v[46:47], s[10:11]
	v_add_f64 v[24:25], v[26:27], v[24:25]
	v_fma_f64 v[26:27], v[223:224], s[20:21], v[30:31]
	s_clause 0x5
	buffer_load_dword v30, off, s[60:63], 0 offset:388
	buffer_load_dword v31, off, s[60:63], 0 offset:392
	;; [unrolled: 1-line block ×6, first 2 shown]
	v_add_f64 v[24:25], v[28:29], v[24:25]
	v_add_f64 v[20:21], v[26:27], v[20:21]
	v_fma_f64 v[26:27], v[191:192], s[8:9], v[38:39]
	s_clause 0x1
	buffer_load_dword v38, off, s[60:63], 0 offset:364
	buffer_load_dword v39, off, s[60:63], 0 offset:368
	v_mul_f64 v[28:29], v[231:232], s[10:11]
	v_add_f64 v[156:157], v[156:157], v[20:21]
	s_waitcnt vmcnt(6)
	v_add_f64 v[26:27], v[26:27], v[30:31]
	v_fma_f64 v[30:31], v[189:190], s[8:9], -v[42:43]
	s_waitcnt vmcnt(2)
	v_add_f64 v[12:13], v[12:13], v[36:37]
	v_fma_f64 v[36:37], v[193:194], s[22:23], -v[150:151]
	v_fma_f64 v[42:43], v[209:210], s[18:19], -v[250:251]
	;; [unrolled: 1-line block ×3, first 2 shown]
	v_fma_f64 v[189:190], v[219:220], s[2:3], v[28:29]
	v_add_f64 v[30:31], v[30:31], v[32:33]
	v_fma_f64 v[32:33], v[195:196], s[34:35], v[166:167]
	s_waitcnt vmcnt(0)
	v_add_f64 v[22:23], v[22:23], v[38:39]
	v_fma_f64 v[38:39], v[211:212], s[26:27], v[182:183]
	v_add_f64 v[182:183], v[18:19], v[24:25]
	v_add_f64 v[24:25], v[229:230], v[2:3]
	v_mul_f64 v[166:167], v[205:206], s[54:55]
	v_add_f64 v[26:27], v[32:33], v[26:27]
	v_fma_f64 v[32:33], v[193:194], s[34:35], -v[168:169]
	v_add_f64 v[22:23], v[36:37], v[22:23]
	v_fma_f64 v[36:37], v[203:204], s[26:27], -v[184:185]
	v_fma_f64 v[168:169], v[221:222], s[26:27], v[252:253]
	v_add_f64 v[30:31], v[32:33], v[30:31]
	v_fma_f64 v[32:33], v[199:200], s[2:3], v[174:175]
	v_add_f64 v[26:27], v[32:33], v[26:27]
	v_fma_f64 v[32:33], v[197:198], s[2:3], -v[176:177]
	v_add_f64 v[26:27], v[38:39], v[26:27]
	v_add_f64 v[30:31], v[32:33], v[30:31]
	v_fma_f64 v[32:33], v[195:196], s[22:23], v[148:149]
	v_fma_f64 v[38:39], v[199:200], s[8:9], v[170:171]
	v_fma_f64 v[170:171], v[219:220], s[2:3], -v[28:29]
	v_mul_f64 v[148:149], v[205:206], s[10:11]
	v_add_f64 v[28:29], v[44:45], v[6:7]
	v_add_f64 v[30:31], v[36:37], v[30:31]
	;; [unrolled: 1-line block ×3, first 2 shown]
	v_fma_f64 v[36:37], v[211:212], s[18:19], v[178:179]
	v_fma_f64 v[32:33], v[197:198], s[8:9], -v[172:173]
	v_fma_f64 v[178:179], v[219:220], s[22:23], -v[164:165]
	v_fma_f64 v[164:165], v[219:220], s[22:23], v[164:165]
	v_fma_f64 v[191:192], v[213:214], s[2:3], -v[148:149]
	v_add_f64 v[30:31], v[42:43], v[30:31]
	v_add_f64 v[12:13], v[38:39], v[12:13]
	v_fma_f64 v[38:39], v[203:204], s[18:19], -v[180:181]
	v_add_f64 v[22:23], v[32:33], v[22:23]
	v_fma_f64 v[32:33], v[223:224], s[18:19], v[247:248]
	v_mul_f64 v[42:43], v[205:206], s[30:31]
	v_fma_f64 v[180:181], v[213:214], s[22:23], v[166:167]
	v_fma_f64 v[166:167], v[213:214], s[22:23], -v[166:167]
	v_add_f64 v[186:187], v[132:133], v[30:31]
	v_add_f64 v[12:13], v[36:37], v[12:13]
	v_mul_f64 v[36:37], v[231:232], s[16:17]
	v_add_f64 v[30:31], v[34:35], v[4:5]
	v_add_f64 v[26:27], v[32:33], v[26:27]
	v_fma_f64 v[32:33], v[215:216], s[2:3], v[40:41]
	v_fma_f64 v[40:41], v[215:216], s[2:3], -v[40:41]
	v_add_f64 v[22:23], v[38:39], v[22:23]
	v_mul_f64 v[38:39], v[231:232], s[30:31]
	v_fma_f64 v[176:177], v[213:214], s[26:27], v[42:43]
	v_add_f64 v[34:35], v[178:179], v[239:240]
	v_fma_f64 v[42:43], v[213:214], s[26:27], -v[42:43]
	v_add_f64 v[12:13], v[134:135], v[12:13]
	v_fma_f64 v[172:173], v[219:220], s[20:21], -v[36:37]
	v_fma_f64 v[134:135], v[213:214], s[2:3], v[148:149]
	v_add_f64 v[184:185], v[146:147], v[26:27]
	v_add_f64 v[26:27], v[158:159], v[0:1]
	v_add_f64 v[40:41], v[40:41], v[16:17]
	v_mov_b32_e32 v1, 4
	v_add_f64 v[22:23], v[150:151], v[22:23]
	v_fma_f64 v[150:151], v[213:214], s[20:21], v[152:153]
	v_fma_f64 v[174:175], v[219:220], s[26:27], -v[38:39]
	v_add_f64 v[32:33], v[32:33], v[217:218]
	v_add_f64 v[20:21], v[176:177], v[160:161]
	v_fma_f64 v[38:39], v[219:220], s[26:27], v[38:39]
	v_fma_f64 v[36:37], v[219:220], s[20:21], v[36:37]
	v_fma_f64 v[152:153], v[213:214], s[20:21], -v[152:153]
	v_add_f64 v[168:169], v[168:169], v[12:13]
	s_clause 0x1
	buffer_load_dword v12, off, s[60:63], 0 offset:572
	buffer_load_dword v13, off, s[60:63], 0 offset:576
	v_add_f64 v[132:133], v[166:167], v[40:41]
	v_add_f64 v[193:194], v[144:145], v[22:23]
	;; [unrolled: 1-line block ×9, first 2 shown]
	s_waitcnt vmcnt(0)
	v_add_f64 v[14:15], v[170:171], v[12:13]
	s_clause 0x3
	buffer_load_dword v12, off, s[60:63], 0 offset:580
	buffer_load_dword v13, off, s[60:63], 0 offset:584
	;; [unrolled: 1-line block ×4, first 2 shown]
	s_waitcnt vmcnt(2)
	v_add_f64 v[12:13], v[134:135], v[12:13]
	s_waitcnt vmcnt(0)
	v_add_f64 v[18:19], v[172:173], v[16:17]
	s_clause 0x2
	buffer_load_dword v16, off, s[60:63], 0 offset:596
	buffer_load_dword v17, off, s[60:63], 0 offset:600
	buffer_load_dword v0, off, s[60:63], 0
	v_add_f64 v[134:135], v[164:165], v[162:163]
	s_waitcnt vmcnt(1)
	v_add_f64 v[16:17], v[150:151], v[16:17]
	s_waitcnt vmcnt(0)
	v_mul_lo_u16 v0, v0, 17
	v_add_f64 v[150:151], v[36:37], v[184:185]
	v_lshlrev_b32_sdwa v0, v1, v0 dst_sel:DWORD dst_unused:UNUSED_PAD src0_sel:DWORD src1_sel:WORD_0
	s_clause 0x3
	buffer_load_dword v1, off, s[60:63], 0 offset:44
	buffer_load_dword v2, off, s[60:63], 0 offset:48
	;; [unrolled: 1-line block ×4, first 2 shown]
	s_waitcnt vmcnt(0)
	ds_write_b128 v0, v[1:4]
	ds_write_b128 v0, v[12:15] offset:16
	ds_write_b128 v0, v[16:19] offset:32
	;; [unrolled: 1-line block ×8, first 2 shown]
	s_clause 0x3
	buffer_load_dword v1, off, s[60:63], 0 offset:348
	buffer_load_dword v2, off, s[60:63], 0 offset:352
	;; [unrolled: 1-line block ×4, first 2 shown]
	s_waitcnt vmcnt(0)
	ds_write_b128 v0, v[1:4] offset:144
	ds_write_b128 v0, v[124:127] offset:160
	;; [unrolled: 1-line block ×8, first 2 shown]
.LBB0_17:
	s_or_b32 exec_lo, exec_lo, s1
	s_waitcnt lgkmcnt(0)
	s_waitcnt_vscnt null, 0x0
	s_barrier
	buffer_gl0_inv
	ds_read_b128 v[0:3], v188 offset:11424
	ds_read_b128 v[4:7], v188 offset:13328
	;; [unrolled: 1-line block ×6, first 2 shown]
	s_clause 0x7
	buffer_load_dword v144, off, s[60:63], 0 offset:76
	buffer_load_dword v145, off, s[60:63], 0 offset:80
	;; [unrolled: 1-line block ×8, first 2 shown]
	s_waitcnt lgkmcnt(5)
	v_mul_f64 v[36:37], v[54:55], v[2:3]
	v_mul_f64 v[38:39], v[54:55], v[0:1]
	s_waitcnt lgkmcnt(4)
	v_mul_f64 v[40:41], v[58:59], v[6:7]
	v_mul_f64 v[42:43], v[58:59], v[4:5]
	;; [unrolled: 3-line block ×3, first 2 shown]
	v_fma_f64 v[0:1], v[52:53], v[0:1], v[36:37]
	v_fma_f64 v[2:3], v[52:53], v[2:3], -v[38:39]
	v_fma_f64 v[4:5], v[56:57], v[4:5], v[40:41]
	v_fma_f64 v[6:7], v[56:57], v[6:7], -v[42:43]
	;; [unrolled: 2-line block ×3, first 2 shown]
	s_waitcnt vmcnt(4)
	v_mul_f64 v[54:55], v[146:147], v[10:11]
	v_mul_f64 v[58:59], v[146:147], v[8:9]
	s_clause 0x3
	buffer_load_dword v146, off, s[60:63], 0 offset:92
	buffer_load_dword v147, off, s[60:63], 0 offset:96
	;; [unrolled: 1-line block ×4, first 2 shown]
	s_waitcnt vmcnt(4) lgkmcnt(1)
	v_mul_f64 v[130:131], v[46:47], v[18:19]
	v_mul_f64 v[46:47], v[46:47], v[16:17]
	ds_read_b128 v[24:27], v188
	ds_read_b128 v[28:31], v188 offset:1904
	ds_read_b128 v[32:35], v188 offset:3808
	;; [unrolled: 1-line block ×4, first 2 shown]
	v_fma_f64 v[36:37], v[144:145], v[8:9], v[54:55]
	v_fma_f64 v[38:39], v[144:145], v[10:11], -v[58:59]
	ds_read_b128 v[8:11], v188 offset:7616
	v_fma_f64 v[48:49], v[44:45], v[16:17], v[130:131]
	v_fma_f64 v[50:51], v[44:45], v[18:19], -v[46:47]
	s_waitcnt lgkmcnt(5)
	v_add_f64 v[16:17], v[24:25], -v[0:1]
	s_waitcnt lgkmcnt(2)
	v_add_f64 v[0:1], v[124:125], -v[40:41]
	s_waitcnt vmcnt(0) lgkmcnt(0)
	s_barrier
	buffer_gl0_inv
	v_add_f64 v[18:19], v[26:27], -v[2:3]
	v_add_f64 v[2:3], v[126:127], -v[42:43]
	;; [unrolled: 1-line block ×4, first 2 shown]
	v_fma_f64 v[24:25], v[24:25], 2.0, -v[16:17]
	v_fma_f64 v[26:27], v[26:27], 2.0, -v[18:19]
	v_fma_f64 v[32:33], v[32:33], 2.0, -v[44:45]
	v_fma_f64 v[34:35], v[34:35], 2.0, -v[46:47]
	v_mul_f64 v[132:133], v[148:149], v[22:23]
	v_mul_f64 v[134:135], v[148:149], v[20:21]
	v_fma_f64 v[52:53], v[146:147], v[20:21], v[132:133]
	v_fma_f64 v[54:55], v[146:147], v[22:23], -v[134:135]
	v_add_f64 v[20:21], v[28:29], -v[4:5]
	v_add_f64 v[22:23], v[30:31], -v[6:7]
	;; [unrolled: 1-line block ×4, first 2 shown]
	v_fma_f64 v[48:49], v[124:125], 2.0, -v[0:1]
	v_fma_f64 v[50:51], v[126:127], 2.0, -v[2:3]
	v_add_f64 v[36:37], v[12:13], -v[52:53]
	v_add_f64 v[38:39], v[14:15], -v[54:55]
	v_fma_f64 v[28:29], v[28:29], 2.0, -v[20:21]
	v_fma_f64 v[30:31], v[30:31], 2.0, -v[22:23]
	;; [unrolled: 1-line block ×5, first 2 shown]
	buffer_load_dword v12, off, s[60:63], 0 offset:148 ; 4-byte Folded Reload
	v_fma_f64 v[42:43], v[14:15], 2.0, -v[38:39]
	s_waitcnt vmcnt(0)
	ds_write_b128 v12, v[16:19] offset:272
	ds_write_b128 v12, v[24:27]
	buffer_load_dword v12, off, s[60:63], 0 offset:140 ; 4-byte Folded Reload
	s_waitcnt vmcnt(0)
	ds_write_b128 v12, v[28:31]
	ds_write_b128 v12, v[20:23] offset:272
	buffer_load_dword v12, off, s[60:63], 0 offset:132 ; 4-byte Folded Reload
	s_waitcnt vmcnt(0)
	ds_write_b128 v12, v[32:35]
	ds_write_b128 v12, v[44:47] offset:272
	;; [unrolled: 4-line block ×5, first 2 shown]
	s_waitcnt lgkmcnt(0)
	s_barrier
	buffer_gl0_inv
	ds_read_b128 v[44:47], v188
	ds_read_b128 v[128:131], v188 offset:3264
	ds_read_b128 v[124:127], v188 offset:6528
	;; [unrolled: 1-line block ×6, first 2 shown]
	s_and_saveexec_b32 s1, s0
	s_cbranch_execz .LBB0_19
; %bb.18:
	ds_read_b128 v[0:3], v188 offset:1904
	ds_read_b128 v[8:11], v188 offset:5168
	;; [unrolled: 1-line block ×7, first 2 shown]
.LBB0_19:
	s_or_b32 exec_lo, exec_lo, s1
	s_waitcnt lgkmcnt(5)
	v_mul_f64 v[12:13], v[110:111], v[130:131]
	v_mul_f64 v[14:15], v[110:111], v[128:129]
	s_waitcnt lgkmcnt(4)
	v_mul_f64 v[16:17], v[102:103], v[126:127]
	v_mul_f64 v[18:19], v[102:103], v[124:125]
	;; [unrolled: 3-line block ×3, first 2 shown]
	v_mul_f64 v[24:25], v[98:99], v[58:59]
	v_mul_f64 v[26:27], v[98:99], v[56:57]
	v_mul_f64 v[28:29], v[90:91], v[54:55]
	v_mul_f64 v[30:31], v[90:91], v[52:53]
	v_mul_f64 v[32:33], v[94:95], v[50:51]
	v_mul_f64 v[34:35], v[94:95], v[48:49]
	s_mov_b32 s10, 0x37e14327
	s_mov_b32 s18, 0xe976ee23
	;; [unrolled: 1-line block ×10, first 2 shown]
	v_fma_f64 v[12:13], v[108:109], v[128:129], v[12:13]
	v_fma_f64 v[14:15], v[108:109], v[130:131], -v[14:15]
	v_fma_f64 v[16:17], v[100:101], v[124:125], v[16:17]
	v_fma_f64 v[18:19], v[100:101], v[126:127], -v[18:19]
	;; [unrolled: 2-line block ×6, first 2 shown]
	s_mov_b32 s17, 0xbff2aaaa
	s_mov_b32 s20, 0x5476071b
	;; [unrolled: 1-line block ×10, first 2 shown]
	s_barrier
	buffer_gl0_inv
	v_add_f64 v[48:49], v[12:13], v[20:21]
	v_add_f64 v[50:51], v[14:15], v[22:23]
	;; [unrolled: 1-line block ×4, first 2 shown]
	v_add_f64 v[16:17], v[16:17], -v[24:25]
	v_add_f64 v[18:19], v[18:19], -v[26:27]
	v_add_f64 v[24:25], v[28:29], v[32:33]
	v_add_f64 v[26:27], v[30:31], v[34:35]
	v_add_f64 v[28:29], v[32:33], -v[28:29]
	v_add_f64 v[30:31], v[34:35], -v[30:31]
	;; [unrolled: 1-line block ×4, first 2 shown]
	v_add_f64 v[12:13], v[52:53], v[48:49]
	v_add_f64 v[14:15], v[54:55], v[50:51]
	v_add_f64 v[32:33], v[48:49], -v[24:25]
	v_add_f64 v[34:35], v[50:51], -v[26:27]
	;; [unrolled: 1-line block ×6, first 2 shown]
	v_add_f64 v[16:17], v[28:29], v[16:17]
	v_add_f64 v[18:19], v[30:31], v[18:19]
	v_add_f64 v[28:29], v[20:21], -v[28:29]
	v_add_f64 v[30:31], v[22:23], -v[30:31]
	v_add_f64 v[92:93], v[24:25], v[12:13]
	v_add_f64 v[94:95], v[26:27], v[14:15]
	v_add_f64 v[24:25], v[24:25], -v[52:53]
	v_add_f64 v[26:27], v[26:27], -v[54:55]
	v_mul_f64 v[32:33], v[32:33], s[10:11]
	v_mul_f64 v[34:35], v[34:35], s[10:11]
	v_mul_f64 v[56:57], v[56:57], s[18:19]
	v_mul_f64 v[58:59], v[58:59], s[18:19]
	v_mul_f64 v[96:97], v[88:89], s[2:3]
	v_mul_f64 v[98:99], v[90:91], s[2:3]
	v_add_f64 v[16:17], v[16:17], v[20:21]
	v_add_f64 v[18:19], v[18:19], v[22:23]
	;; [unrolled: 1-line block ×4, first 2 shown]
	v_add_f64 v[44:45], v[52:53], -v[48:49]
	v_add_f64 v[46:47], v[54:55], -v[50:51]
	v_mul_f64 v[48:49], v[24:25], s[8:9]
	v_mul_f64 v[50:51], v[26:27], s[8:9]
	v_fma_f64 v[20:21], v[24:25], s[8:9], v[32:33]
	v_fma_f64 v[22:23], v[26:27], s[8:9], v[34:35]
	;; [unrolled: 1-line block ×4, first 2 shown]
	v_fma_f64 v[52:53], v[88:89], s[2:3], -v[56:57]
	v_fma_f64 v[54:55], v[90:91], s[2:3], -v[58:59]
	;; [unrolled: 1-line block ×4, first 2 shown]
	v_fma_f64 v[56:57], v[92:93], s[16:17], v[12:13]
	v_fma_f64 v[58:59], v[94:95], s[16:17], v[14:15]
	v_fma_f64 v[32:33], v[44:45], s[22:23], -v[32:33]
	v_fma_f64 v[34:35], v[46:47], s[22:23], -v[34:35]
	;; [unrolled: 1-line block ×4, first 2 shown]
	v_fma_f64 v[48:49], v[16:17], s[28:29], v[24:25]
	v_fma_f64 v[50:51], v[18:19], s[28:29], v[26:27]
	;; [unrolled: 1-line block ×6, first 2 shown]
	v_add_f64 v[92:93], v[20:21], v[56:57]
	v_add_f64 v[94:95], v[22:23], v[58:59]
	;; [unrolled: 1-line block ×7, first 2 shown]
	v_add_f64 v[18:19], v[94:95], -v[48:49]
	v_add_f64 v[20:21], v[90:91], v[32:33]
	v_add_f64 v[22:23], v[34:35], -v[88:89]
	v_add_f64 v[24:25], v[28:29], -v[54:55]
	v_add_f64 v[26:27], v[52:53], v[30:31]
	v_add_f64 v[28:29], v[54:55], v[28:29]
	v_add_f64 v[30:31], v[30:31], -v[52:53]
	v_add_f64 v[32:33], v[32:33], -v[90:91]
	v_add_f64 v[34:35], v[88:89], v[34:35]
	v_add_f64 v[44:45], v[92:93], -v[50:51]
	v_add_f64 v[46:47], v[48:49], v[94:95]
	ds_write_b128 v249, v[12:15]
	ds_write_b128 v249, v[16:19] offset:544
	ds_write_b128 v249, v[20:23] offset:1088
	;; [unrolled: 1-line block ×6, first 2 shown]
	s_and_saveexec_b32 s1, s0
	s_cbranch_execz .LBB0_21
; %bb.20:
	s_clause 0x17
	buffer_load_dword v88, off, s[60:63], 0 offset:236
	buffer_load_dword v89, off, s[60:63], 0 offset:240
	;; [unrolled: 1-line block ×24, first 2 shown]
	s_waitcnt vmcnt(20)
	v_mul_f64 v[12:13], v[90:91], v[136:137]
	s_waitcnt vmcnt(16)
	v_mul_f64 v[14:15], v[58:59], v[8:9]
	;; [unrolled: 2-line block ×4, first 2 shown]
	v_mul_f64 v[20:21], v[58:59], v[10:11]
	v_mul_f64 v[22:23], v[90:91], v[138:139]
	;; [unrolled: 1-line block ×4, first 2 shown]
	s_waitcnt vmcnt(4)
	v_mul_f64 v[28:29], v[50:51], v[38:39]
	s_waitcnt vmcnt(0)
	v_mul_f64 v[30:31], v[46:47], v[42:43]
	v_mul_f64 v[32:33], v[46:47], v[40:41]
	;; [unrolled: 1-line block ×3, first 2 shown]
	v_fma_f64 v[12:13], v[88:89], v[138:139], -v[12:13]
	v_fma_f64 v[10:11], v[56:57], v[10:11], -v[14:15]
	;; [unrolled: 1-line block ×4, first 2 shown]
	v_fma_f64 v[8:9], v[56:57], v[8:9], v[20:21]
	v_fma_f64 v[16:17], v[88:89], v[136:137], v[22:23]
	v_fma_f64 v[4:5], v[52:53], v[4:5], v[24:25]
	v_fma_f64 v[18:19], v[92:93], v[140:141], v[26:27]
	v_fma_f64 v[20:21], v[48:49], v[36:37], v[28:29]
	v_fma_f64 v[22:23], v[44:45], v[40:41], v[30:31]
	v_fma_f64 v[24:25], v[44:45], v[42:43], -v[32:33]
	v_fma_f64 v[26:27], v[48:49], v[38:39], -v[34:35]
	v_add_f64 v[28:29], v[10:11], v[12:13]
	v_add_f64 v[10:11], v[10:11], -v[12:13]
	v_add_f64 v[30:31], v[6:7], v[14:15]
	v_add_f64 v[6:7], v[6:7], -v[14:15]
	;; [unrolled: 2-line block ×4, first 2 shown]
	v_add_f64 v[36:37], v[20:21], -v[22:23]
	v_add_f64 v[20:21], v[22:23], v[20:21]
	v_add_f64 v[18:19], v[24:25], v[26:27]
	v_add_f64 v[22:23], v[26:27], -v[24:25]
	v_add_f64 v[16:17], v[30:31], v[28:29]
	v_add_f64 v[42:43], v[6:7], -v[10:11]
	;; [unrolled: 2-line block ×3, first 2 shown]
	v_add_f64 v[14:15], v[36:37], -v[4:5]
	v_add_f64 v[26:27], v[32:33], -v[20:21]
	;; [unrolled: 1-line block ×5, first 2 shown]
	v_add_f64 v[4:5], v[36:37], v[4:5]
	v_add_f64 v[6:7], v[22:23], v[6:7]
	v_add_f64 v[22:23], v[10:11], -v[22:23]
	v_add_f64 v[28:29], v[30:31], -v[28:29]
	;; [unrolled: 1-line block ×3, first 2 shown]
	v_add_f64 v[16:17], v[18:19], v[16:17]
	v_add_f64 v[18:19], v[18:19], -v[30:31]
	v_mul_f64 v[46:47], v[42:43], s[2:3]
	v_add_f64 v[12:13], v[20:21], v[12:13]
	v_add_f64 v[20:21], v[20:21], -v[34:35]
	v_mul_f64 v[14:15], v[14:15], s[18:19]
	v_mul_f64 v[26:27], v[26:27], s[10:11]
	v_mul_f64 v[24:25], v[24:25], s[10:11]
	v_mul_f64 v[36:37], v[38:39], s[2:3]
	v_mul_f64 v[40:41], v[40:41], s[18:19]
	v_add_f64 v[4:5], v[4:5], v[8:9]
	v_add_f64 v[6:7], v[6:7], v[10:11]
	;; [unrolled: 1-line block ×3, first 2 shown]
	v_mul_f64 v[30:31], v[18:19], s[8:9]
	v_add_f64 v[0:1], v[0:1], v[12:13]
	v_mul_f64 v[34:35], v[20:21], s[8:9]
	v_fma_f64 v[8:9], v[44:45], s[24:25], v[14:15]
	v_fma_f64 v[14:15], v[38:39], s[2:3], -v[14:15]
	v_fma_f64 v[10:11], v[18:19], s[8:9], v[24:25]
	v_fma_f64 v[18:19], v[20:21], s[8:9], v[26:27]
	v_fma_f64 v[20:21], v[44:45], s[26:27], -v[36:37]
	v_fma_f64 v[24:25], v[28:29], s[22:23], -v[24:25]
	;; [unrolled: 1-line block ×4, first 2 shown]
	v_fma_f64 v[16:17], v[16:17], s[16:17], v[2:3]
	v_fma_f64 v[28:29], v[28:29], s[20:21], -v[30:31]
	v_fma_f64 v[30:31], v[22:23], s[24:25], v[40:41]
	v_fma_f64 v[22:23], v[22:23], s[26:27], -v[46:47]
	;; [unrolled: 2-line block ×3, first 2 shown]
	v_fma_f64 v[8:9], v[4:5], s[28:29], v[8:9]
	v_fma_f64 v[20:21], v[4:5], s[28:29], v[20:21]
	;; [unrolled: 1-line block ×4, first 2 shown]
	v_add_f64 v[34:35], v[10:11], v[16:17]
	v_add_f64 v[24:25], v[24:25], v[16:17]
	;; [unrolled: 1-line block ×3, first 2 shown]
	v_fma_f64 v[28:29], v[6:7], s[28:29], v[30:31]
	v_add_f64 v[38:39], v[18:19], v[12:13]
	v_fma_f64 v[30:31], v[6:7], s[28:29], v[22:23]
	v_add_f64 v[40:41], v[26:27], v[12:13]
	v_add_f64 v[12:13], v[32:33], v[12:13]
	v_add_f64 v[26:27], v[34:35], -v[8:9]
	v_add_f64 v[10:11], v[20:21], v[24:25]
	v_add_f64 v[14:15], v[16:17], -v[4:5]
	v_add_f64 v[18:19], v[4:5], v[16:17]
	v_add_f64 v[22:23], v[24:25], -v[20:21]
	v_add_f64 v[24:25], v[28:29], v[38:39]
	v_add_f64 v[4:5], v[38:39], -v[28:29]
	buffer_load_dword v29, off, s[60:63], 0 offset:60 ; 4-byte Folded Reload
	v_mov_b32_e32 v28, 0xee
	v_add_f64 v[20:21], v[30:31], v[40:41]
	v_add_f64 v[16:17], v[12:13], -v[36:37]
	v_add_f64 v[12:13], v[36:37], v[12:13]
	v_add_f64 v[6:7], v[8:9], v[34:35]
	v_add_f64 v[8:9], v[40:41], -v[30:31]
	s_waitcnt vmcnt(0)
	v_mul_u32_u24_sdwa v28, v29, v28 dst_sel:DWORD dst_unused:UNUSED_PAD src0_sel:WORD_0 src1_sel:DWORD
	buffer_load_dword v29, off, s[60:63], 0 offset:68 ; 4-byte Folded Reload
	s_waitcnt vmcnt(0)
	v_add_lshl_u32 v28, v28, v29, 4
	ds_write_b128 v28, v[0:3]
	ds_write_b128 v28, v[24:27] offset:544
	ds_write_b128 v28, v[20:23] offset:1088
	;; [unrolled: 1-line block ×6, first 2 shown]
.LBB0_21:
	s_or_b32 exec_lo, exec_lo, s1
	s_waitcnt lgkmcnt(0)
	s_barrier
	buffer_gl0_inv
	ds_read_b128 v[0:3], v188 offset:11424
	ds_read_b128 v[4:7], v188 offset:19040
	ds_read_b128 v[8:11], v188 offset:13328
	ds_read_b128 v[12:15], v188 offset:20944
	ds_read_b128 v[16:19], v188 offset:3808
	ds_read_b128 v[20:23], v188 offset:5712
	ds_read_b128 v[24:27], v188 offset:7616
	ds_read_b128 v[28:31], v188 offset:15232
	s_mov_b32 s0, 0xe8584caa
	s_mov_b32 s1, 0xbfebb67a
	;; [unrolled: 1-line block ×4, first 2 shown]
	s_waitcnt lgkmcnt(7)
	v_mul_f64 v[32:33], v[78:79], v[0:1]
	s_waitcnt lgkmcnt(6)
	v_mul_f64 v[34:35], v[118:119], v[4:5]
	s_waitcnt lgkmcnt(5)
	v_mul_f64 v[40:41], v[114:115], v[8:9]
	s_waitcnt lgkmcnt(4)
	v_mul_f64 v[42:43], v[122:123], v[12:13]
	s_waitcnt lgkmcnt(3)
	v_mul_f64 v[44:45], v[74:75], v[16:17]
	v_mul_f64 v[46:47], v[78:79], v[2:3]
	v_mul_f64 v[48:49], v[118:119], v[6:7]
	;; [unrolled: 1-line block ×3, first 2 shown]
	s_waitcnt lgkmcnt(0)
	v_mul_f64 v[56:57], v[82:83], v[30:31]
	v_mul_f64 v[58:59], v[82:83], v[28:29]
	;; [unrolled: 1-line block ×3, first 2 shown]
	v_fma_f64 v[50:51], v[76:77], v[2:3], -v[32:33]
	v_fma_f64 v[52:53], v[116:117], v[6:7], -v[34:35]
	v_mul_f64 v[2:3], v[62:63], v[20:21]
	v_mul_f64 v[6:7], v[114:115], v[10:11]
	v_fma_f64 v[10:11], v[112:113], v[10:11], -v[40:41]
	v_fma_f64 v[14:15], v[120:121], v[14:15], -v[42:43]
	ds_read_b128 v[32:35], v188 offset:9520
	ds_read_b128 v[36:39], v188 offset:17136
	v_mul_f64 v[40:41], v[86:87], v[26:27]
	v_mul_f64 v[42:43], v[86:87], v[24:25]
	v_fma_f64 v[46:47], v[76:77], v[0:1], v[46:47]
	v_fma_f64 v[48:49], v[116:117], v[4:5], v[48:49]
	v_fma_f64 v[18:19], v[72:73], v[18:19], -v[44:45]
	v_mul_f64 v[62:63], v[62:63], v[22:23]
	v_fma_f64 v[12:13], v[120:121], v[12:13], v[54:55]
	v_fma_f64 v[28:29], v[80:81], v[28:29], v[56:57]
	v_fma_f64 v[30:31], v[80:81], v[30:31], -v[58:59]
	v_fma_f64 v[16:17], v[72:73], v[16:17], v[74:75]
	v_add_f64 v[4:5], v[50:51], v[52:53]
	v_fma_f64 v[22:23], v[60:61], v[22:23], -v[2:3]
	s_waitcnt lgkmcnt(1)
	v_mul_f64 v[44:45], v[70:71], v[34:35]
	v_mul_f64 v[70:71], v[70:71], v[32:33]
	s_waitcnt lgkmcnt(0)
	v_mul_f64 v[76:77], v[66:67], v[38:39]
	v_mul_f64 v[66:67], v[66:67], v[36:37]
	v_fma_f64 v[8:9], v[112:113], v[8:9], v[6:7]
	v_add_f64 v[6:7], v[10:11], v[14:15]
	v_fma_f64 v[24:25], v[84:85], v[24:25], v[40:41]
	v_fma_f64 v[26:27], v[84:85], v[26:27], -v[42:43]
	v_add_f64 v[40:41], v[46:47], v[48:49]
	v_add_f64 v[42:43], v[46:47], -v[48:49]
	ds_read_b128 v[0:3], v188
	v_fma_f64 v[20:21], v[60:61], v[20:21], v[62:63]
	v_add_f64 v[72:73], v[10:11], -v[14:15]
	v_fma_f64 v[54:55], v[4:5], -0.5, v[18:19]
	v_add_f64 v[18:19], v[18:19], v[50:51]
	v_fma_f64 v[32:33], v[68:69], v[32:33], v[44:45]
	v_fma_f64 v[34:35], v[68:69], v[34:35], -v[70:71]
	v_fma_f64 v[36:37], v[64:65], v[36:37], v[76:77]
	v_fma_f64 v[38:39], v[64:65], v[38:39], -v[66:67]
	v_add_f64 v[44:45], v[8:9], v[12:13]
	v_add_f64 v[56:57], v[8:9], -v[12:13]
	v_fma_f64 v[58:59], v[6:7], -0.5, v[22:23]
	ds_read_b128 v[4:7], v188 offset:1904
	s_waitcnt lgkmcnt(1)
	v_add_f64 v[60:61], v[0:1], v[24:25]
	v_add_f64 v[62:63], v[24:25], v[28:29]
	v_add_f64 v[64:65], v[26:27], -v[30:31]
	v_add_f64 v[66:67], v[2:3], v[26:27]
	v_add_f64 v[26:27], v[26:27], v[30:31]
	v_add_f64 v[68:69], v[50:51], -v[52:53]
	v_fma_f64 v[40:41], v[40:41], -0.5, v[16:17]
	v_add_f64 v[16:17], v[16:17], v[46:47]
	v_add_f64 v[8:9], v[20:21], v[8:9]
	;; [unrolled: 1-line block ×3, first 2 shown]
	v_add_f64 v[24:25], v[24:25], -v[28:29]
	v_fma_f64 v[70:71], v[42:43], s[2:3], v[54:55]
	v_fma_f64 v[42:43], v[42:43], s[0:1], v[54:55]
	v_add_f64 v[18:19], v[18:19], v[52:53]
	v_add_f64 v[46:47], v[32:33], v[36:37]
	;; [unrolled: 1-line block ×3, first 2 shown]
	v_fma_f64 v[44:45], v[44:45], -0.5, v[20:21]
	v_add_f64 v[74:75], v[34:35], -v[38:39]
	v_fma_f64 v[50:51], v[56:57], s[2:3], v[58:59]
	v_fma_f64 v[56:57], v[56:57], s[0:1], v[58:59]
	s_waitcnt lgkmcnt(0)
	v_add_f64 v[58:59], v[4:5], v[32:33]
	v_add_f64 v[34:35], v[6:7], v[34:35]
	;; [unrolled: 1-line block ×3, first 2 shown]
	v_fma_f64 v[0:1], v[62:63], -0.5, v[0:1]
	v_add_f64 v[22:23], v[66:67], v[30:31]
	v_fma_f64 v[2:3], v[26:27], -0.5, v[2:3]
	v_fma_f64 v[26:27], v[68:69], s[0:1], v[40:41]
	v_fma_f64 v[28:29], v[68:69], s[2:3], v[40:41]
	v_add_f64 v[32:33], v[32:33], -v[36:37]
	v_add_f64 v[16:17], v[16:17], v[48:49]
	v_add_f64 v[12:13], v[8:9], v[12:13]
	;; [unrolled: 1-line block ×3, first 2 shown]
	v_mul_f64 v[30:31], v[70:71], s[0:1]
	v_mul_f64 v[60:61], v[70:71], 0.5
	v_mul_f64 v[40:41], v[42:43], s[0:1]
	v_mul_f64 v[42:43], v[42:43], -0.5
	v_fma_f64 v[4:5], v[46:47], -0.5, v[4:5]
	v_fma_f64 v[6:7], v[54:55], -0.5, v[6:7]
	v_fma_f64 v[46:47], v[72:73], s[0:1], v[44:45]
	v_fma_f64 v[44:45], v[72:73], s[2:3], v[44:45]
	v_mul_f64 v[54:55], v[50:51], s[0:1]
	v_mul_f64 v[50:51], v[50:51], 0.5
	v_mul_f64 v[62:63], v[56:57], s[0:1]
	v_mul_f64 v[56:57], v[56:57], -0.5
	v_add_f64 v[36:37], v[58:59], v[36:37]
	v_add_f64 v[34:35], v[34:35], v[38:39]
	v_fma_f64 v[38:39], v[64:65], s[0:1], v[0:1]
	v_fma_f64 v[52:53], v[24:25], s[2:3], v[2:3]
	;; [unrolled: 1-line block ×4, first 2 shown]
	v_add_f64 v[2:3], v[22:23], v[18:19]
	v_add_f64 v[0:1], v[20:21], v[16:17]
	v_fma_f64 v[24:25], v[26:27], 0.5, v[30:31]
	v_fma_f64 v[26:27], v[26:27], s[2:3], v[60:61]
	v_fma_f64 v[30:31], v[28:29], -0.5, v[40:41]
	v_fma_f64 v[40:41], v[28:29], s[2:3], v[42:43]
	v_fma_f64 v[42:43], v[74:75], s[0:1], v[4:5]
	;; [unrolled: 1-line block ×5, first 2 shown]
	v_fma_f64 v[54:55], v[46:47], 0.5, v[54:55]
	v_fma_f64 v[46:47], v[46:47], s[2:3], v[50:51]
	v_fma_f64 v[62:63], v[44:45], -0.5, v[62:63]
	v_fma_f64 v[50:51], v[44:45], s[2:3], v[56:57]
	v_add_f64 v[4:5], v[20:21], -v[16:17]
	v_add_f64 v[6:7], v[22:23], -v[18:19]
	v_add_f64 v[8:9], v[36:37], v[12:13]
	v_add_f64 v[10:11], v[34:35], v[14:15]
	v_add_f64 v[12:13], v[36:37], -v[12:13]
	v_add_f64 v[14:15], v[34:35], -v[14:15]
	v_add_f64 v[16:17], v[38:39], v[24:25]
	v_add_f64 v[18:19], v[52:53], v[26:27]
	;; [unrolled: 1-line block ×4, first 2 shown]
	v_add_f64 v[24:25], v[38:39], -v[24:25]
	v_add_f64 v[26:27], v[52:53], -v[26:27]
	;; [unrolled: 1-line block ×4, first 2 shown]
	v_add_f64 v[32:33], v[42:43], v[54:55]
	v_add_f64 v[34:35], v[64:65], v[46:47]
	;; [unrolled: 1-line block ×4, first 2 shown]
	v_add_f64 v[40:41], v[42:43], -v[54:55]
	v_add_f64 v[42:43], v[64:65], -v[46:47]
	v_add_f64 v[44:45], v[60:61], -v[62:63]
	v_add_f64 v[46:47], v[66:67], -v[50:51]
	ds_write_b128 v188, v[0:3]
	ds_write_b128 v188, v[4:7] offset:11424
	ds_write_b128 v188, v[8:11] offset:1904
	;; [unrolled: 1-line block ×11, first 2 shown]
	s_waitcnt lgkmcnt(0)
	s_barrier
	buffer_gl0_inv
	s_and_b32 exec_lo, exec_lo, vcc_lo
	s_cbranch_execz .LBB0_23
; %bb.22:
	global_load_dwordx4 v[0:3], v255, s[12:13]
	ds_read_b128 v[4:7], v188
	ds_read_b128 v[8:11], v255 offset:1344
	ds_read_b128 v[12:15], v255 offset:21504
	s_clause 0x2
	buffer_load_dword v18, off, s[60:63], 0 offset:4
	buffer_load_dword v19, off, s[60:63], 0 offset:8
	buffer_load_dword v21, off, s[60:63], 0
	s_mov_b32 s0, 0x16f26017
	s_mov_b32 s1, 0x3f46f260
	v_add_co_u32 v22, s2, s12, v255
	v_add_co_ci_u32_e64 v23, null, s13, 0, s2
	s_mul_i32 s2, s5, 0x540
	s_mul_i32 s3, s4, 0x540
	s_waitcnt vmcnt(3) lgkmcnt(2)
	v_mul_f64 v[16:17], v[6:7], v[2:3]
	v_mul_f64 v[2:3], v[4:5], v[2:3]
	s_waitcnt vmcnt(2)
	v_mov_b32_e32 v20, v18
	s_waitcnt vmcnt(1)
	v_mad_u64_u32 v[18:19], null, s6, v20, 0
	v_fma_f64 v[4:5], v[4:5], v[0:1], v[16:17]
	v_fma_f64 v[2:3], v[0:1], v[6:7], -v[2:3]
	s_waitcnt vmcnt(0)
	v_mad_u64_u32 v[6:7], null, s4, v21, 0
	v_mov_b32_e32 v0, v19
	v_mov_b32_e32 v1, v7
	v_mad_u64_u32 v[16:17], null, s7, v20, v[0:1]
	v_mov_b32_e32 v19, v16
	v_mad_u64_u32 v[20:21], null, s5, v21, v[1:2]
	v_mul_f64 v[0:1], v[4:5], s[0:1]
	v_mul_f64 v[2:3], v[2:3], s[0:1]
	v_lshlrev_b64 v[4:5], 4, v[18:19]
	s_mul_hi_u32 s5, s4, 0x540
	s_add_i32 s2, s5, s2
	v_mov_b32_e32 v7, v20
	v_add_co_u32 v4, vcc_lo, s14, v4
	v_add_co_ci_u32_e32 v5, vcc_lo, s15, v5, vcc_lo
	v_lshlrev_b64 v[6:7], 4, v[6:7]
	v_add_co_u32 v4, vcc_lo, v4, v6
	v_add_co_ci_u32_e32 v5, vcc_lo, v5, v7, vcc_lo
	v_add_co_u32 v16, vcc_lo, v4, s3
	global_store_dwordx4 v[4:5], v[0:3], off
	global_load_dwordx4 v[0:3], v255, s[12:13] offset:1344
	v_add_co_ci_u32_e32 v17, vcc_lo, s2, v5, vcc_lo
	v_add_co_u32 v18, vcc_lo, 0x800, v22
	v_add_co_ci_u32_e32 v19, vcc_lo, 0, v23, vcc_lo
	s_waitcnt vmcnt(0) lgkmcnt(1)
	v_mul_f64 v[6:7], v[10:11], v[2:3]
	v_mul_f64 v[2:3], v[8:9], v[2:3]
	v_fma_f64 v[6:7], v[8:9], v[0:1], v[6:7]
	v_fma_f64 v[2:3], v[0:1], v[10:11], -v[2:3]
	v_mul_f64 v[0:1], v[6:7], s[0:1]
	v_mul_f64 v[2:3], v[2:3], s[0:1]
	global_store_dwordx4 v[16:17], v[0:3], off
	global_load_dwordx4 v[0:3], v[18:19], off offset:640
	ds_read_b128 v[4:7], v255 offset:2688
	ds_read_b128 v[8:11], v255 offset:4032
	s_waitcnt vmcnt(0) lgkmcnt(1)
	v_mul_f64 v[20:21], v[6:7], v[2:3]
	v_mul_f64 v[2:3], v[4:5], v[2:3]
	v_fma_f64 v[4:5], v[4:5], v[0:1], v[20:21]
	v_fma_f64 v[2:3], v[0:1], v[6:7], -v[2:3]
	v_mul_f64 v[0:1], v[4:5], s[0:1]
	v_mul_f64 v[2:3], v[2:3], s[0:1]
	v_add_co_u32 v4, vcc_lo, v16, s3
	v_add_co_ci_u32_e32 v5, vcc_lo, s2, v17, vcc_lo
	v_add_co_u32 v16, vcc_lo, v4, s3
	v_add_co_ci_u32_e32 v17, vcc_lo, s2, v5, vcc_lo
	global_store_dwordx4 v[4:5], v[0:3], off
	global_load_dwordx4 v[0:3], v[18:19], off offset:1984
	v_add_co_u32 v4, vcc_lo, 0x1000, v22
	v_add_co_ci_u32_e32 v5, vcc_lo, 0, v23, vcc_lo
	s_waitcnt vmcnt(0) lgkmcnt(0)
	v_mul_f64 v[6:7], v[10:11], v[2:3]
	v_mul_f64 v[2:3], v[8:9], v[2:3]
	v_fma_f64 v[6:7], v[8:9], v[0:1], v[6:7]
	v_fma_f64 v[2:3], v[0:1], v[10:11], -v[2:3]
	v_mul_f64 v[0:1], v[6:7], s[0:1]
	v_mul_f64 v[2:3], v[2:3], s[0:1]
	global_store_dwordx4 v[16:17], v[0:3], off
	global_load_dwordx4 v[0:3], v[4:5], off offset:1280
	ds_read_b128 v[4:7], v255 offset:5376
	ds_read_b128 v[8:11], v255 offset:6720
	s_waitcnt vmcnt(0) lgkmcnt(1)
	v_mul_f64 v[18:19], v[6:7], v[2:3]
	v_mul_f64 v[2:3], v[4:5], v[2:3]
	v_fma_f64 v[4:5], v[4:5], v[0:1], v[18:19]
	v_fma_f64 v[2:3], v[0:1], v[6:7], -v[2:3]
	v_mul_f64 v[0:1], v[4:5], s[0:1]
	v_mul_f64 v[2:3], v[2:3], s[0:1]
	v_add_co_u32 v4, vcc_lo, v16, s3
	v_add_co_ci_u32_e32 v5, vcc_lo, s2, v17, vcc_lo
	v_add_co_u32 v6, vcc_lo, 0x1800, v22
	v_add_co_ci_u32_e32 v7, vcc_lo, 0, v23, vcc_lo
	global_store_dwordx4 v[4:5], v[0:3], off
	global_load_dwordx4 v[0:3], v[6:7], off offset:576
	s_waitcnt vmcnt(0) lgkmcnt(0)
	v_mul_f64 v[16:17], v[10:11], v[2:3]
	v_mul_f64 v[2:3], v[8:9], v[2:3]
	v_fma_f64 v[8:9], v[8:9], v[0:1], v[16:17]
	v_fma_f64 v[2:3], v[0:1], v[10:11], -v[2:3]
	v_add_co_u32 v16, vcc_lo, v4, s3
	v_add_co_ci_u32_e32 v17, vcc_lo, s2, v5, vcc_lo
	v_mul_f64 v[0:1], v[8:9], s[0:1]
	v_mul_f64 v[2:3], v[2:3], s[0:1]
	global_store_dwordx4 v[16:17], v[0:3], off
	global_load_dwordx4 v[0:3], v[6:7], off offset:1920
	ds_read_b128 v[4:7], v255 offset:8064
	ds_read_b128 v[8:11], v255 offset:9408
	s_waitcnt vmcnt(0) lgkmcnt(1)
	v_mul_f64 v[18:19], v[6:7], v[2:3]
	v_mul_f64 v[2:3], v[4:5], v[2:3]
	v_fma_f64 v[4:5], v[4:5], v[0:1], v[18:19]
	v_fma_f64 v[2:3], v[0:1], v[6:7], -v[2:3]
	v_mul_f64 v[0:1], v[4:5], s[0:1]
	v_mul_f64 v[2:3], v[2:3], s[0:1]
	v_add_co_u32 v4, vcc_lo, v16, s3
	v_add_co_ci_u32_e32 v5, vcc_lo, s2, v17, vcc_lo
	v_add_co_u32 v6, vcc_lo, 0x2000, v22
	v_add_co_ci_u32_e32 v7, vcc_lo, 0, v23, vcc_lo
	;; [unrolled: 2-line block ×4, first 2 shown]
	global_store_dwordx4 v[4:5], v[0:3], off
	global_load_dwordx4 v[0:3], v[6:7], off offset:1216
	s_waitcnt vmcnt(0) lgkmcnt(0)
	v_mul_f64 v[6:7], v[10:11], v[2:3]
	v_mul_f64 v[2:3], v[8:9], v[2:3]
	v_fma_f64 v[6:7], v[8:9], v[0:1], v[6:7]
	v_fma_f64 v[2:3], v[0:1], v[10:11], -v[2:3]
	v_mul_f64 v[0:1], v[6:7], s[0:1]
	v_mul_f64 v[2:3], v[2:3], s[0:1]
	global_store_dwordx4 v[16:17], v[0:3], off
	global_load_dwordx4 v[0:3], v[18:19], off offset:512
	ds_read_b128 v[4:7], v255 offset:10752
	ds_read_b128 v[8:11], v255 offset:12096
	s_waitcnt vmcnt(0) lgkmcnt(1)
	v_mul_f64 v[20:21], v[6:7], v[2:3]
	v_mul_f64 v[2:3], v[4:5], v[2:3]
	v_fma_f64 v[4:5], v[4:5], v[0:1], v[20:21]
	v_fma_f64 v[2:3], v[0:1], v[6:7], -v[2:3]
	v_mul_f64 v[0:1], v[4:5], s[0:1]
	v_mul_f64 v[2:3], v[2:3], s[0:1]
	v_add_co_u32 v4, vcc_lo, v16, s3
	v_add_co_ci_u32_e32 v5, vcc_lo, s2, v17, vcc_lo
	v_add_co_u32 v16, vcc_lo, v4, s3
	v_add_co_ci_u32_e32 v17, vcc_lo, s2, v5, vcc_lo
	global_store_dwordx4 v[4:5], v[0:3], off
	global_load_dwordx4 v[0:3], v[18:19], off offset:1856
	v_add_co_u32 v4, vcc_lo, 0x3000, v22
	v_add_co_ci_u32_e32 v5, vcc_lo, 0, v23, vcc_lo
	s_waitcnt vmcnt(0) lgkmcnt(0)
	v_mul_f64 v[6:7], v[10:11], v[2:3]
	v_mul_f64 v[2:3], v[8:9], v[2:3]
	v_fma_f64 v[6:7], v[8:9], v[0:1], v[6:7]
	v_fma_f64 v[2:3], v[0:1], v[10:11], -v[2:3]
	v_mul_f64 v[0:1], v[6:7], s[0:1]
	v_mul_f64 v[2:3], v[2:3], s[0:1]
	global_store_dwordx4 v[16:17], v[0:3], off
	global_load_dwordx4 v[0:3], v[4:5], off offset:1152
	ds_read_b128 v[4:7], v255 offset:13440
	ds_read_b128 v[8:11], v255 offset:14784
	s_waitcnt vmcnt(0) lgkmcnt(1)
	v_mul_f64 v[18:19], v[6:7], v[2:3]
	v_mul_f64 v[2:3], v[4:5], v[2:3]
	v_fma_f64 v[4:5], v[4:5], v[0:1], v[18:19]
	v_fma_f64 v[2:3], v[0:1], v[6:7], -v[2:3]
	v_mul_f64 v[0:1], v[4:5], s[0:1]
	v_mul_f64 v[2:3], v[2:3], s[0:1]
	v_add_co_u32 v4, vcc_lo, v16, s3
	v_add_co_ci_u32_e32 v5, vcc_lo, s2, v17, vcc_lo
	v_add_co_u32 v6, vcc_lo, 0x3800, v22
	v_add_co_ci_u32_e32 v7, vcc_lo, 0, v23, vcc_lo
	global_store_dwordx4 v[4:5], v[0:3], off
	global_load_dwordx4 v[0:3], v[6:7], off offset:448
	s_waitcnt vmcnt(0) lgkmcnt(0)
	v_mul_f64 v[16:17], v[10:11], v[2:3]
	v_mul_f64 v[2:3], v[8:9], v[2:3]
	v_fma_f64 v[8:9], v[8:9], v[0:1], v[16:17]
	v_fma_f64 v[2:3], v[0:1], v[10:11], -v[2:3]
	v_add_co_u32 v16, vcc_lo, v4, s3
	v_add_co_ci_u32_e32 v17, vcc_lo, s2, v5, vcc_lo
	v_mul_f64 v[0:1], v[8:9], s[0:1]
	v_mul_f64 v[2:3], v[2:3], s[0:1]
	global_store_dwordx4 v[16:17], v[0:3], off
	global_load_dwordx4 v[0:3], v[6:7], off offset:1792
	ds_read_b128 v[4:7], v255 offset:16128
	ds_read_b128 v[8:11], v255 offset:17472
	s_waitcnt vmcnt(0) lgkmcnt(1)
	v_mul_f64 v[18:19], v[6:7], v[2:3]
	v_mul_f64 v[2:3], v[4:5], v[2:3]
	v_fma_f64 v[4:5], v[4:5], v[0:1], v[18:19]
	v_fma_f64 v[2:3], v[0:1], v[6:7], -v[2:3]
	v_mul_f64 v[0:1], v[4:5], s[0:1]
	v_mul_f64 v[2:3], v[2:3], s[0:1]
	v_add_co_u32 v4, vcc_lo, v16, s3
	v_add_co_ci_u32_e32 v5, vcc_lo, s2, v17, vcc_lo
	v_add_co_u32 v6, vcc_lo, 0x4000, v22
	v_add_co_ci_u32_e32 v7, vcc_lo, 0, v23, vcc_lo
	;; [unrolled: 2-line block ×4, first 2 shown]
	global_store_dwordx4 v[4:5], v[0:3], off
	global_load_dwordx4 v[0:3], v[6:7], off offset:1088
	s_waitcnt vmcnt(0) lgkmcnt(0)
	v_mul_f64 v[6:7], v[10:11], v[2:3]
	v_mul_f64 v[2:3], v[8:9], v[2:3]
	v_fma_f64 v[6:7], v[8:9], v[0:1], v[6:7]
	v_fma_f64 v[2:3], v[0:1], v[10:11], -v[2:3]
	v_mul_f64 v[0:1], v[6:7], s[0:1]
	v_mul_f64 v[2:3], v[2:3], s[0:1]
	global_store_dwordx4 v[16:17], v[0:3], off
	global_load_dwordx4 v[0:3], v[18:19], off offset:384
	ds_read_b128 v[4:7], v255 offset:18816
	ds_read_b128 v[8:11], v255 offset:20160
	s_waitcnt vmcnt(0) lgkmcnt(1)
	v_mul_f64 v[20:21], v[6:7], v[2:3]
	v_mul_f64 v[2:3], v[4:5], v[2:3]
	v_fma_f64 v[4:5], v[4:5], v[0:1], v[20:21]
	v_fma_f64 v[2:3], v[0:1], v[6:7], -v[2:3]
	v_mul_f64 v[0:1], v[4:5], s[0:1]
	v_mul_f64 v[2:3], v[2:3], s[0:1]
	v_add_co_u32 v4, vcc_lo, v16, s3
	v_add_co_ci_u32_e32 v5, vcc_lo, s2, v17, vcc_lo
	global_store_dwordx4 v[4:5], v[0:3], off
	global_load_dwordx4 v[0:3], v[18:19], off offset:1728
	v_add_co_u32 v4, vcc_lo, v4, s3
	v_add_co_ci_u32_e32 v5, vcc_lo, s2, v5, vcc_lo
	s_waitcnt vmcnt(0) lgkmcnt(0)
	v_mul_f64 v[6:7], v[10:11], v[2:3]
	v_mul_f64 v[2:3], v[8:9], v[2:3]
	v_fma_f64 v[6:7], v[8:9], v[0:1], v[6:7]
	v_fma_f64 v[2:3], v[0:1], v[10:11], -v[2:3]
	v_mul_f64 v[0:1], v[6:7], s[0:1]
	v_mul_f64 v[2:3], v[2:3], s[0:1]
	v_add_co_u32 v6, vcc_lo, 0x5000, v22
	v_add_co_ci_u32_e32 v7, vcc_lo, 0, v23, vcc_lo
	global_store_dwordx4 v[4:5], v[0:3], off
	global_load_dwordx4 v[0:3], v[6:7], off offset:1024
	v_add_co_u32 v4, vcc_lo, v4, s3
	v_add_co_ci_u32_e32 v5, vcc_lo, s2, v5, vcc_lo
	s_waitcnt vmcnt(0)
	v_mul_f64 v[6:7], v[14:15], v[2:3]
	v_mul_f64 v[2:3], v[12:13], v[2:3]
	v_fma_f64 v[6:7], v[12:13], v[0:1], v[6:7]
	v_fma_f64 v[2:3], v[0:1], v[14:15], -v[2:3]
	v_mul_f64 v[0:1], v[6:7], s[0:1]
	v_mul_f64 v[2:3], v[2:3], s[0:1]
	global_store_dwordx4 v[4:5], v[0:3], off
.LBB0_23:
	s_endpgm
	.section	.rodata,"a",@progbits
	.p2align	6, 0x0
	.amdhsa_kernel bluestein_single_fwd_len1428_dim1_dp_op_CI_CI
		.amdhsa_group_segment_fixed_size 22848
		.amdhsa_private_segment_fixed_size 608
		.amdhsa_kernarg_size 104
		.amdhsa_user_sgpr_count 6
		.amdhsa_user_sgpr_private_segment_buffer 1
		.amdhsa_user_sgpr_dispatch_ptr 0
		.amdhsa_user_sgpr_queue_ptr 0
		.amdhsa_user_sgpr_kernarg_segment_ptr 1
		.amdhsa_user_sgpr_dispatch_id 0
		.amdhsa_user_sgpr_flat_scratch_init 0
		.amdhsa_user_sgpr_private_segment_size 0
		.amdhsa_wavefront_size32 1
		.amdhsa_uses_dynamic_stack 0
		.amdhsa_system_sgpr_private_segment_wavefront_offset 1
		.amdhsa_system_sgpr_workgroup_id_x 1
		.amdhsa_system_sgpr_workgroup_id_y 0
		.amdhsa_system_sgpr_workgroup_id_z 0
		.amdhsa_system_sgpr_workgroup_info 0
		.amdhsa_system_vgpr_workitem_id 0
		.amdhsa_next_free_vgpr 256
		.amdhsa_next_free_sgpr 64
		.amdhsa_reserve_vcc 1
		.amdhsa_reserve_flat_scratch 0
		.amdhsa_float_round_mode_32 0
		.amdhsa_float_round_mode_16_64 0
		.amdhsa_float_denorm_mode_32 3
		.amdhsa_float_denorm_mode_16_64 3
		.amdhsa_dx10_clamp 1
		.amdhsa_ieee_mode 1
		.amdhsa_fp16_overflow 0
		.amdhsa_workgroup_processor_mode 1
		.amdhsa_memory_ordered 1
		.amdhsa_forward_progress 0
		.amdhsa_shared_vgpr_count 0
		.amdhsa_exception_fp_ieee_invalid_op 0
		.amdhsa_exception_fp_denorm_src 0
		.amdhsa_exception_fp_ieee_div_zero 0
		.amdhsa_exception_fp_ieee_overflow 0
		.amdhsa_exception_fp_ieee_underflow 0
		.amdhsa_exception_fp_ieee_inexact 0
		.amdhsa_exception_int_div_zero 0
	.end_amdhsa_kernel
	.text
.Lfunc_end0:
	.size	bluestein_single_fwd_len1428_dim1_dp_op_CI_CI, .Lfunc_end0-bluestein_single_fwd_len1428_dim1_dp_op_CI_CI
                                        ; -- End function
	.section	.AMDGPU.csdata,"",@progbits
; Kernel info:
; codeLenInByte = 32252
; NumSgprs: 66
; NumVgprs: 256
; ScratchSize: 608
; MemoryBound: 0
; FloatMode: 240
; IeeeMode: 1
; LDSByteSize: 22848 bytes/workgroup (compile time only)
; SGPRBlocks: 8
; VGPRBlocks: 31
; NumSGPRsForWavesPerEU: 66
; NumVGPRsForWavesPerEU: 256
; Occupancy: 4
; WaveLimiterHint : 1
; COMPUTE_PGM_RSRC2:SCRATCH_EN: 1
; COMPUTE_PGM_RSRC2:USER_SGPR: 6
; COMPUTE_PGM_RSRC2:TRAP_HANDLER: 0
; COMPUTE_PGM_RSRC2:TGID_X_EN: 1
; COMPUTE_PGM_RSRC2:TGID_Y_EN: 0
; COMPUTE_PGM_RSRC2:TGID_Z_EN: 0
; COMPUTE_PGM_RSRC2:TIDIG_COMP_CNT: 0
	.text
	.p2alignl 6, 3214868480
	.fill 48, 4, 3214868480
	.type	__hip_cuid_7e3347005fb8499c,@object ; @__hip_cuid_7e3347005fb8499c
	.section	.bss,"aw",@nobits
	.globl	__hip_cuid_7e3347005fb8499c
__hip_cuid_7e3347005fb8499c:
	.byte	0                               ; 0x0
	.size	__hip_cuid_7e3347005fb8499c, 1

	.ident	"AMD clang version 19.0.0git (https://github.com/RadeonOpenCompute/llvm-project roc-6.4.0 25133 c7fe45cf4b819c5991fe208aaa96edf142730f1d)"
	.section	".note.GNU-stack","",@progbits
	.addrsig
	.addrsig_sym __hip_cuid_7e3347005fb8499c
	.amdgpu_metadata
---
amdhsa.kernels:
  - .args:
      - .actual_access:  read_only
        .address_space:  global
        .offset:         0
        .size:           8
        .value_kind:     global_buffer
      - .actual_access:  read_only
        .address_space:  global
        .offset:         8
        .size:           8
        .value_kind:     global_buffer
      - .actual_access:  read_only
        .address_space:  global
        .offset:         16
        .size:           8
        .value_kind:     global_buffer
      - .actual_access:  read_only
        .address_space:  global
        .offset:         24
        .size:           8
        .value_kind:     global_buffer
      - .actual_access:  read_only
        .address_space:  global
        .offset:         32
        .size:           8
        .value_kind:     global_buffer
      - .offset:         40
        .size:           8
        .value_kind:     by_value
      - .address_space:  global
        .offset:         48
        .size:           8
        .value_kind:     global_buffer
      - .address_space:  global
        .offset:         56
        .size:           8
        .value_kind:     global_buffer
      - .address_space:  global
        .offset:         64
        .size:           8
        .value_kind:     global_buffer
      - .address_space:  global
        .offset:         72
        .size:           8
        .value_kind:     global_buffer
      - .offset:         80
        .size:           4
        .value_kind:     by_value
      - .address_space:  global
        .offset:         88
        .size:           8
        .value_kind:     global_buffer
      - .address_space:  global
        .offset:         96
        .size:           8
        .value_kind:     global_buffer
    .group_segment_fixed_size: 22848
    .kernarg_segment_align: 8
    .kernarg_segment_size: 104
    .language:       OpenCL C
    .language_version:
      - 2
      - 0
    .max_flat_workgroup_size: 119
    .name:           bluestein_single_fwd_len1428_dim1_dp_op_CI_CI
    .private_segment_fixed_size: 608
    .sgpr_count:     66
    .sgpr_spill_count: 0
    .symbol:         bluestein_single_fwd_len1428_dim1_dp_op_CI_CI.kd
    .uniform_work_group_size: 1
    .uses_dynamic_stack: false
    .vgpr_count:     256
    .vgpr_spill_count: 213
    .wavefront_size: 32
    .workgroup_processor_mode: 1
amdhsa.target:   amdgcn-amd-amdhsa--gfx1030
amdhsa.version:
  - 1
  - 2
...

	.end_amdgpu_metadata
